;; amdgpu-corpus repo=ROCm/rocFFT kind=compiled arch=gfx906 opt=O3
	.text
	.amdgcn_target "amdgcn-amd-amdhsa--gfx906"
	.amdhsa_code_object_version 6
	.protected	bluestein_single_fwd_len1430_dim1_sp_op_CI_CI ; -- Begin function bluestein_single_fwd_len1430_dim1_sp_op_CI_CI
	.globl	bluestein_single_fwd_len1430_dim1_sp_op_CI_CI
	.p2align	8
	.type	bluestein_single_fwd_len1430_dim1_sp_op_CI_CI,@function
bluestein_single_fwd_len1430_dim1_sp_op_CI_CI: ; @bluestein_single_fwd_len1430_dim1_sp_op_CI_CI
; %bb.0:
	s_load_dwordx4 s[0:3], s[4:5], 0x28
	v_mul_u32_u24_e32 v1, 0x1cb, v0
	v_add_u32_sdwa v64, s6, v1 dst_sel:DWORD dst_unused:UNUSED_PAD src0_sel:DWORD src1_sel:WORD_1
	v_mov_b32_e32 v65, 0
	s_waitcnt lgkmcnt(0)
	v_cmp_gt_u64_e32 vcc, s[0:1], v[64:65]
	s_and_saveexec_b64 s[0:1], vcc
	s_cbranch_execz .LBB0_23
; %bb.1:
	s_load_dwordx2 s[10:11], s[4:5], 0x0
	s_load_dwordx2 s[8:9], s[4:5], 0x38
	s_movk_i32 s0, 0x8f
	v_mul_lo_u16_sdwa v1, v1, s0 dst_sel:DWORD dst_unused:UNUSED_PAD src0_sel:WORD_1 src1_sel:DWORD
	v_sub_u16_e32 v70, v0, v1
	s_movk_i32 s0, 0x6e
	v_cmp_gt_u16_e64 s[0:1], s0, v70
	v_lshlrev_b32_e32 v69, 3, v70
	s_and_saveexec_b64 s[6:7], s[0:1]
	s_cbranch_execz .LBB0_3
; %bb.2:
	s_load_dwordx2 s[12:13], s[4:5], 0x18
	s_waitcnt lgkmcnt(0)
	s_load_dwordx4 s[12:15], s[12:13], 0x0
	s_waitcnt lgkmcnt(0)
	v_mad_u64_u32 v[0:1], s[16:17], s14, v64, 0
	v_mad_u64_u32 v[2:3], s[16:17], s12, v70, 0
	;; [unrolled: 1-line block ×4, first 2 shown]
	v_mov_b32_e32 v1, v4
	v_lshlrev_b64 v[0:1], 3, v[0:1]
	v_mov_b32_e32 v3, v5
	v_mov_b32_e32 v6, s3
	v_lshlrev_b64 v[2:3], 3, v[2:3]
	v_add_co_u32_e32 v0, vcc, s2, v0
	v_addc_co_u32_e32 v1, vcc, v6, v1, vcc
	v_add_co_u32_e32 v0, vcc, v0, v2
	v_addc_co_u32_e32 v1, vcc, v1, v3, vcc
	v_mov_b32_e32 v2, s11
	v_add_co_u32_e32 v44, vcc, s10, v69
	s_mul_i32 s2, s13, 0x370
	s_mul_hi_u32 s3, s12, 0x370
	v_addc_co_u32_e32 v45, vcc, 0, v2, vcc
	s_add_i32 s2, s3, s2
	s_mul_i32 s3, s12, 0x370
	v_mov_b32_e32 v3, s2
	v_add_co_u32_e32 v2, vcc, s3, v0
	v_addc_co_u32_e32 v3, vcc, v1, v3, vcc
	v_mov_b32_e32 v5, s2
	v_add_co_u32_e32 v4, vcc, s3, v2
	v_addc_co_u32_e32 v5, vcc, v3, v5, vcc
	v_mov_b32_e32 v7, s2
	v_add_co_u32_e32 v6, vcc, s3, v4
	v_addc_co_u32_e32 v7, vcc, v5, v7, vcc
	global_load_dwordx2 v[8:9], v[0:1], off
	global_load_dwordx2 v[10:11], v[2:3], off
	;; [unrolled: 1-line block ×4, first 2 shown]
	global_load_dwordx2 v[16:17], v69, s[10:11]
	global_load_dwordx2 v[18:19], v69, s[10:11] offset:880
	global_load_dwordx2 v[20:21], v69, s[10:11] offset:1760
	;; [unrolled: 1-line block ×3, first 2 shown]
	v_mov_b32_e32 v1, s2
	v_add_co_u32_e32 v0, vcc, s3, v6
	v_addc_co_u32_e32 v1, vcc, v7, v1, vcc
	global_load_dwordx2 v[2:3], v[0:1], off
	global_load_dwordx2 v[4:5], v69, s[10:11] offset:3520
	v_mov_b32_e32 v6, s2
	v_add_co_u32_e32 v0, vcc, s3, v0
	v_addc_co_u32_e32 v1, vcc, v1, v6, vcc
	s_movk_i32 s12, 0x1000
	v_add_co_u32_e32 v24, vcc, s12, v44
	v_addc_co_u32_e32 v25, vcc, 0, v45, vcc
	global_load_dwordx2 v[6:7], v[0:1], off
	v_mov_b32_e32 v26, s2
	v_add_co_u32_e32 v0, vcc, s3, v0
	v_addc_co_u32_e32 v1, vcc, v1, v26, vcc
	global_load_dwordx2 v[26:27], v[0:1], off
	v_mov_b32_e32 v28, s2
	;; [unrolled: 4-line block ×3, first 2 shown]
	v_add_co_u32_e32 v0, vcc, s3, v0
	v_addc_co_u32_e32 v1, vcc, v1, v30, vcc
	global_load_dwordx2 v[30:31], v[0:1], off
	global_load_dwordx2 v[32:33], v[24:25], off offset:304
	global_load_dwordx2 v[34:35], v[24:25], off offset:1184
	;; [unrolled: 1-line block ×4, first 2 shown]
	v_mov_b32_e32 v40, s2
	v_add_co_u32_e32 v0, vcc, s3, v0
	v_addc_co_u32_e32 v1, vcc, v1, v40, vcc
	global_load_dwordx2 v[40:41], v[0:1], off
	global_load_dwordx2 v[42:43], v[24:25], off offset:3824
	v_mov_b32_e32 v24, s2
	v_add_co_u32_e32 v0, vcc, s3, v0
	v_addc_co_u32_e32 v1, vcc, v1, v24, vcc
	s_movk_i32 s12, 0x2000
	v_add_co_u32_e32 v44, vcc, s12, v44
	v_addc_co_u32_e32 v45, vcc, 0, v45, vcc
	global_load_dwordx2 v[24:25], v[0:1], off
	v_mov_b32_e32 v48, s2
	v_add_co_u32_e32 v0, vcc, s3, v0
	v_addc_co_u32_e32 v1, vcc, v1, v48, vcc
	global_load_dwordx2 v[46:47], v[44:45], off offset:608
	global_load_dwordx2 v[48:49], v[0:1], off
	global_load_dwordx2 v[50:51], v[44:45], off offset:1488
	v_mov_b32_e32 v52, s2
	v_add_co_u32_e32 v0, vcc, s3, v0
	v_addc_co_u32_e32 v1, vcc, v1, v52, vcc
	global_load_dwordx2 v[52:53], v[0:1], off
	global_load_dwordx2 v[54:55], v[44:45], off offset:2368
	s_waitcnt vmcnt(21)
	v_mul_f32_e32 v0, v9, v17
	v_mul_f32_e32 v1, v8, v17
	v_fmac_f32_e32 v0, v8, v16
	v_fma_f32 v1, v9, v16, -v1
	s_waitcnt vmcnt(20)
	v_mul_f32_e32 v8, v11, v19
	v_mul_f32_e32 v9, v10, v19
	v_fmac_f32_e32 v8, v10, v18
	v_fma_f32 v9, v11, v18, -v9
	ds_write2_b64 v69, v[0:1], v[8:9] offset1:110
	s_waitcnt vmcnt(19)
	v_mul_f32_e32 v0, v13, v21
	v_mul_f32_e32 v1, v12, v21
	s_waitcnt vmcnt(18)
	v_mul_f32_e32 v8, v15, v23
	v_mul_f32_e32 v9, v14, v23
	v_fmac_f32_e32 v0, v12, v20
	v_fma_f32 v1, v13, v20, -v1
	v_fmac_f32_e32 v8, v14, v22
	v_fma_f32 v9, v15, v22, -v9
	v_add_u32_e32 v10, 0x400, v69
	ds_write2_b64 v10, v[0:1], v[8:9] offset0:92 offset1:202
	s_waitcnt vmcnt(16)
	v_mul_f32_e32 v0, v3, v5
	v_mul_f32_e32 v1, v2, v5
	v_fmac_f32_e32 v0, v2, v4
	v_fma_f32 v1, v3, v4, -v1
	v_add_u32_e32 v4, 0xc00, v69
	s_waitcnt vmcnt(11)
	v_mul_f32_e32 v2, v7, v33
	v_mul_f32_e32 v3, v6, v33
	v_fmac_f32_e32 v2, v6, v32
	v_fma_f32 v3, v7, v32, -v3
	ds_write2_b64 v4, v[0:1], v[2:3] offset0:56 offset1:166
	s_waitcnt vmcnt(10)
	v_mul_f32_e32 v0, v27, v35
	v_mul_f32_e32 v1, v26, v35
	s_waitcnt vmcnt(9)
	v_mul_f32_e32 v2, v29, v37
	v_mul_f32_e32 v3, v28, v37
	v_fmac_f32_e32 v0, v26, v34
	v_fma_f32 v1, v27, v34, -v1
	v_fmac_f32_e32 v2, v28, v36
	v_fma_f32 v3, v29, v36, -v3
	v_add_u32_e32 v4, 0x1400, v69
	ds_write2_b64 v4, v[0:1], v[2:3] offset0:20 offset1:130
	s_waitcnt vmcnt(8)
	v_mul_f32_e32 v0, v31, v39
	v_mul_f32_e32 v1, v30, v39
	s_waitcnt vmcnt(6)
	v_mul_f32_e32 v2, v41, v43
	v_mul_f32_e32 v3, v40, v43
	v_fmac_f32_e32 v0, v30, v38
	v_fma_f32 v1, v31, v38, -v1
	v_fmac_f32_e32 v2, v40, v42
	v_fma_f32 v3, v41, v42, -v3
	v_add_u32_e32 v4, 0x1800, v69
	ds_write2_b64 v4, v[0:1], v[2:3] offset0:112 offset1:222
	v_add_u32_e32 v4, 0x2000, v69
	s_waitcnt vmcnt(4)
	v_mul_f32_e32 v0, v25, v47
	v_mul_f32_e32 v1, v24, v47
	s_waitcnt vmcnt(2)
	v_mul_f32_e32 v2, v49, v51
	v_mul_f32_e32 v3, v48, v51
	v_fmac_f32_e32 v0, v24, v46
	v_fma_f32 v1, v25, v46, -v1
	v_fmac_f32_e32 v2, v48, v50
	v_fma_f32 v3, v49, v50, -v3
	ds_write2_b64 v4, v[0:1], v[2:3] offset0:76 offset1:186
	s_waitcnt vmcnt(0)
	v_mul_f32_e32 v0, v53, v55
	v_mul_f32_e32 v1, v52, v55
	v_fmac_f32_e32 v0, v52, v54
	v_fma_f32 v1, v53, v54, -v1
	ds_write_b64 v69, v[0:1] offset:10560
.LBB0_3:
	s_or_b64 exec, exec, s[6:7]
	v_mov_b32_e32 v22, 0
	v_mov_b32_e32 v23, 0
	s_waitcnt lgkmcnt(0)
	s_barrier
	s_waitcnt lgkmcnt(0)
                                        ; implicit-def: $vgpr2
                                        ; implicit-def: $vgpr8
                                        ; implicit-def: $vgpr16
                                        ; implicit-def: $vgpr26
                                        ; implicit-def: $vgpr6
                                        ; implicit-def: $vgpr14
	s_and_saveexec_b64 s[2:3], s[0:1]
	s_cbranch_execz .LBB0_5
; %bb.4:
	v_add_u32_e32 v0, 0x400, v69
	ds_read2_b64 v[12:15], v0 offset0:92 offset1:202
	v_add_u32_e32 v0, 0xc00, v69
	ds_read2_b64 v[4:7], v0 offset0:56 offset1:166
	v_add_u32_e32 v0, 0x1400, v69
	v_add_u32_e32 v8, 0x1800, v69
	;; [unrolled: 1-line block ×3, first 2 shown]
	ds_read2_b64 v[22:25], v69 offset1:110
	ds_read2_b64 v[0:3], v0 offset0:20 offset1:130
	ds_read2_b64 v[8:11], v8 offset0:112 offset1:222
	;; [unrolled: 1-line block ×3, first 2 shown]
	ds_read_b64 v[26:27], v69 offset:10560
.LBB0_5:
	s_or_b64 exec, exec, s[2:3]
	s_waitcnt lgkmcnt(4)
	v_add_f32_e32 v20, v24, v22
	v_add_f32_e32 v21, v25, v23
	;; [unrolled: 1-line block ×10, first 2 shown]
	s_waitcnt lgkmcnt(3)
	v_add_f32_e32 v20, v0, v20
	v_add_f32_e32 v21, v1, v21
	;; [unrolled: 1-line block ×4, first 2 shown]
	s_waitcnt lgkmcnt(2)
	v_add_f32_e32 v20, v8, v20
	v_add_f32_e32 v21, v9, v21
	v_add_f32_e32 v20, v10, v20
	v_add_f32_e32 v21, v11, v21
	s_waitcnt lgkmcnt(1)
	v_add_f32_e32 v20, v16, v20
	v_add_f32_e32 v21, v17, v21
	;; [unrolled: 1-line block ×3, first 2 shown]
	s_waitcnt lgkmcnt(0)
	v_add_f32_e32 v28, v26, v24
	v_add_f32_e32 v29, v27, v25
	v_sub_f32_e32 v24, v24, v26
	v_sub_f32_e32 v25, v25, v27
	v_add_f32_e32 v21, v19, v21
	v_add_f32_e32 v20, v26, v20
	v_mul_f32_e32 v26, 0xbeedf032, v25
	s_mov_b32 s6, 0x3f62ad3f
	v_mul_f32_e32 v30, 0xbeedf032, v24
	v_mul_f32_e32 v32, 0xbf52af12, v25
	s_mov_b32 s3, 0x3f116cb1
	v_mul_f32_e32 v34, 0xbf52af12, v24
	;; [unrolled: 3-line block ×6, first 2 shown]
	v_add_f32_e32 v21, v27, v21
	v_fma_f32 v27, v28, s6, -v26
	v_mov_b32_e32 v31, v30
	v_fmac_f32_e32 v26, 0x3f62ad3f, v28
	v_fma_f32 v33, v28, s3, -v32
	v_mov_b32_e32 v35, v34
	v_fmac_f32_e32 v32, 0x3f116cb1, v28
	;; [unrolled: 3-line block ×6, first 2 shown]
	v_add_f32_e32 v27, v27, v22
	v_fmac_f32_e32 v31, 0x3f62ad3f, v29
	v_add_f32_e32 v26, v26, v22
	v_fma_f32 v30, v29, s6, -v30
	v_add_f32_e32 v33, v33, v22
	v_fmac_f32_e32 v35, 0x3f116cb1, v29
	v_add_f32_e32 v32, v32, v22
	v_fma_f32 v34, v29, s3, -v34
	;; [unrolled: 4-line block ×6, first 2 shown]
	v_add_f32_e32 v25, v19, v13
	v_sub_f32_e32 v13, v13, v19
	v_add_f32_e32 v31, v31, v23
	v_add_f32_e32 v30, v30, v23
	;; [unrolled: 1-line block ×13, first 2 shown]
	v_sub_f32_e32 v12, v12, v18
	v_mul_f32_e32 v18, 0xbf52af12, v13
	v_fma_f32 v19, v24, s3, -v18
	v_add_f32_e32 v19, v19, v27
	v_mul_f32_e32 v27, 0xbf52af12, v12
	v_fmac_f32_e32 v18, 0x3f116cb1, v24
	v_mov_b32_e32 v28, v27
	v_add_f32_e32 v18, v18, v26
	v_fma_f32 v26, v25, s3, -v27
	v_mul_f32_e32 v27, 0xbf6f5d39, v13
	v_fmac_f32_e32 v28, 0x3f116cb1, v25
	v_add_f32_e32 v26, v26, v30
	v_fma_f32 v29, v24, s7, -v27
	v_mul_f32_e32 v30, 0xbf6f5d39, v12
	v_fmac_f32_e32 v27, 0xbeb58ec6, v24
	v_add_f32_e32 v28, v28, v31
	v_mov_b32_e32 v31, v30
	v_add_f32_e32 v27, v27, v32
	v_fma_f32 v30, v25, s7, -v30
	v_mul_f32_e32 v32, 0xbe750f2a, v13
	v_add_f32_e32 v29, v29, v33
	v_fmac_f32_e32 v31, 0xbeb58ec6, v25
	v_add_f32_e32 v30, v30, v34
	v_fma_f32 v33, v24, s15, -v32
	v_mul_f32_e32 v34, 0xbe750f2a, v12
	v_fmac_f32_e32 v32, 0xbf788fa5, v24
	v_add_f32_e32 v31, v31, v35
	v_mov_b32_e32 v35, v34
	v_add_f32_e32 v32, v32, v36
	v_fma_f32 v34, v25, s15, -v34
	v_mul_f32_e32 v36, 0x3f29c268, v13
	v_add_f32_e32 v33, v33, v37
	;; [unrolled: 11-line block ×3, first 2 shown]
	v_add_f32_e32 v38, v38, v42
	v_fma_f32 v41, v24, s2, -v40
	v_mul_f32_e32 v42, 0x3f7e222b, v12
	v_mul_f32_e32 v12, 0x3eedf032, v12
	v_add_f32_e32 v41, v41, v45
	v_fmac_f32_e32 v40, 0x3df6dbef, v24
	v_mul_f32_e32 v13, 0x3eedf032, v13
	v_mov_b32_e32 v45, v12
	v_fma_f32 v12, v25, s6, -v12
	v_add_f32_e32 v40, v40, v44
	v_fma_f32 v44, v24, s6, -v13
	v_fmac_f32_e32 v13, 0x3f62ad3f, v24
	v_add_f32_e32 v12, v12, v23
	v_add_f32_e32 v23, v17, v15
	v_sub_f32_e32 v15, v15, v17
	v_add_f32_e32 v13, v13, v22
	v_add_f32_e32 v22, v16, v14
	v_sub_f32_e32 v14, v14, v16
	v_mul_f32_e32 v16, 0xbf7e222b, v15
	v_fma_f32 v17, v22, s2, -v16
	v_fmac_f32_e32 v39, 0xbf3f9e67, v25
	v_add_f32_e32 v17, v17, v19
	v_mul_f32_e32 v19, 0xbf7e222b, v14
	v_fmac_f32_e32 v16, 0x3df6dbef, v22
	v_add_f32_e32 v39, v39, v43
	v_mov_b32_e32 v43, v42
	v_mov_b32_e32 v24, v19
	v_add_f32_e32 v16, v16, v18
	v_fma_f32 v18, v23, s2, -v19
	v_mul_f32_e32 v19, 0xbe750f2a, v15
	v_fmac_f32_e32 v43, 0x3df6dbef, v25
	v_fma_f32 v42, v25, s2, -v42
	v_fmac_f32_e32 v45, 0x3f62ad3f, v25
	v_fma_f32 v25, v22, s15, -v19
	v_fmac_f32_e32 v19, 0xbf788fa5, v22
	v_fmac_f32_e32 v24, 0x3df6dbef, v23
	v_add_f32_e32 v18, v18, v26
	v_mul_f32_e32 v26, 0xbe750f2a, v14
	v_add_f32_e32 v19, v19, v27
	v_mul_f32_e32 v27, 0x3f6f5d39, v15
	v_add_f32_e32 v24, v24, v28
	v_add_f32_e32 v25, v25, v29
	v_mov_b32_e32 v28, v26
	v_fma_f32 v26, v23, s15, -v26
	v_fma_f32 v29, v22, s7, -v27
	v_fmac_f32_e32 v27, 0xbeb58ec6, v22
	v_fmac_f32_e32 v28, 0xbf788fa5, v23
	v_add_f32_e32 v26, v26, v30
	v_mul_f32_e32 v30, 0x3f6f5d39, v14
	v_add_f32_e32 v27, v27, v32
	v_mul_f32_e32 v32, 0x3eedf032, v15
	v_add_f32_e32 v28, v28, v31
	v_add_f32_e32 v29, v29, v33
	v_mov_b32_e32 v31, v30
	v_fma_f32 v30, v23, s7, -v30
	;; [unrolled: 11-line block ×3, first 2 shown]
	v_fma_f32 v37, v22, s3, -v36
	v_fmac_f32_e32 v36, 0x3f116cb1, v22
	v_mul_f32_e32 v15, 0xbf29c268, v15
	v_add_f32_e32 v34, v34, v38
	v_mul_f32_e32 v38, 0xbf52af12, v14
	v_add_f32_e32 v36, v36, v40
	v_fma_f32 v40, v22, s14, -v15
	v_mul_f32_e32 v14, 0xbf29c268, v14
	v_fmac_f32_e32 v15, 0xbf3f9e67, v22
	v_add_f32_e32 v37, v37, v41
	v_mov_b32_e32 v41, v14
	v_add_f32_e32 v13, v15, v13
	v_fma_f32 v14, v23, s14, -v14
	v_add_f32_e32 v15, v11, v5
	v_sub_f32_e32 v5, v5, v11
	v_add_f32_e32 v12, v14, v12
	v_add_f32_e32 v14, v10, v4
	v_sub_f32_e32 v4, v4, v10
	v_mul_f32_e32 v10, 0xbf6f5d39, v5
	v_fma_f32 v11, v14, s7, -v10
	v_fmac_f32_e32 v35, 0x3f62ad3f, v23
	v_add_f32_e32 v11, v11, v17
	v_mul_f32_e32 v17, 0xbf6f5d39, v4
	v_fmac_f32_e32 v10, 0xbeb58ec6, v14
	v_add_f32_e32 v35, v35, v39
	v_mov_b32_e32 v39, v38
	v_mov_b32_e32 v22, v17
	v_add_f32_e32 v10, v10, v16
	v_fma_f32 v16, v15, s7, -v17
	v_mul_f32_e32 v17, 0x3f29c268, v5
	v_fmac_f32_e32 v39, 0x3f116cb1, v23
	v_fma_f32 v38, v23, s3, -v38
	v_fmac_f32_e32 v41, 0xbf3f9e67, v23
	v_fmac_f32_e32 v22, 0xbeb58ec6, v15
	v_add_f32_e32 v16, v16, v18
	v_fma_f32 v18, v14, s14, -v17
	v_mul_f32_e32 v23, 0x3f29c268, v4
	v_fmac_f32_e32 v17, 0xbf3f9e67, v14
	v_add_f32_e32 v22, v22, v24
	v_mov_b32_e32 v24, v23
	v_add_f32_e32 v17, v17, v19
	v_fma_f32 v19, v15, s14, -v23
	v_mul_f32_e32 v23, 0x3eedf032, v5
	v_add_f32_e32 v18, v18, v25
	v_fma_f32 v25, v14, s6, -v23
	v_fmac_f32_e32 v23, 0x3f62ad3f, v14
	v_fmac_f32_e32 v24, 0xbf3f9e67, v15
	v_add_f32_e32 v19, v19, v26
	v_mul_f32_e32 v26, 0x3eedf032, v4
	v_add_f32_e32 v23, v23, v27
	v_mul_f32_e32 v27, 0xbf7e222b, v5
	v_add_f32_e32 v24, v24, v28
	v_add_f32_e32 v25, v25, v29
	v_mov_b32_e32 v28, v26
	v_fma_f32 v26, v15, s6, -v26
	v_fma_f32 v29, v14, s2, -v27
	v_fmac_f32_e32 v27, 0x3df6dbef, v14
	v_fmac_f32_e32 v28, 0x3f62ad3f, v15
	v_add_f32_e32 v26, v26, v30
	v_mul_f32_e32 v30, 0xbf7e222b, v4
	v_add_f32_e32 v27, v27, v32
	v_mul_f32_e32 v32, 0x3e750f2a, v5
	v_add_f32_e32 v28, v28, v31
	v_add_f32_e32 v29, v29, v33
	v_mov_b32_e32 v31, v30
	v_fma_f32 v30, v15, s2, -v30
	v_fma_f32 v33, v14, s15, -v32
	v_fmac_f32_e32 v32, 0xbf788fa5, v14
	v_mul_f32_e32 v5, 0x3f52af12, v5
	v_add_f32_e32 v30, v30, v34
	v_mul_f32_e32 v34, 0x3e750f2a, v4
	v_add_f32_e32 v32, v32, v36
	v_fma_f32 v36, v14, s3, -v5
	v_mul_f32_e32 v4, 0x3f52af12, v4
	v_fmac_f32_e32 v5, 0x3f116cb1, v14
	v_add_f32_e32 v33, v33, v37
	v_mov_b32_e32 v37, v4
	v_add_f32_e32 v5, v5, v13
	v_fma_f32 v4, v15, s3, -v4
	v_add_f32_e32 v13, v9, v7
	v_sub_f32_e32 v7, v7, v9
	v_add_f32_e32 v4, v4, v12
	v_add_f32_e32 v12, v8, v6
	v_sub_f32_e32 v6, v6, v8
	v_mul_f32_e32 v8, 0xbf29c268, v7
	v_fma_f32 v9, v12, s14, -v8
	v_fmac_f32_e32 v31, 0x3df6dbef, v15
	v_add_f32_e32 v9, v9, v11
	v_mul_f32_e32 v11, 0xbf29c268, v6
	v_fmac_f32_e32 v8, 0xbf3f9e67, v12
	v_add_f32_e32 v31, v31, v35
	v_mov_b32_e32 v35, v34
	v_mov_b32_e32 v14, v11
	v_add_f32_e32 v8, v8, v10
	v_fma_f32 v10, v13, s14, -v11
	v_mul_f32_e32 v11, 0x3f7e222b, v7
	v_fmac_f32_e32 v35, 0xbf788fa5, v15
	v_fma_f32 v34, v15, s15, -v34
	v_fmac_f32_e32 v37, 0x3f116cb1, v15
	v_add_f32_e32 v10, v10, v16
	v_fma_f32 v15, v12, s2, -v11
	v_mul_f32_e32 v16, 0x3f7e222b, v6
	v_fmac_f32_e32 v14, 0xbf3f9e67, v13
	v_add_f32_e32 v15, v15, v18
	v_mov_b32_e32 v18, v16
	v_add_f32_e32 v44, v44, v48
	v_add_f32_e32 v14, v14, v22
	v_fmac_f32_e32 v18, 0x3df6dbef, v13
	v_fmac_f32_e32 v11, 0x3df6dbef, v12
	v_mul_f32_e32 v22, 0xbf52af12, v6
	v_add_f32_e32 v40, v40, v44
	v_add_f32_e32 v18, v18, v24
	;; [unrolled: 1-line block ×3, first 2 shown]
	v_fma_f32 v16, v13, s2, -v16
	v_mul_f32_e32 v17, 0xbf52af12, v7
	v_mov_b32_e32 v24, v22
	v_fma_f32 v22, v13, s3, -v22
	v_add_f32_e32 v36, v36, v40
	v_add_f32_e32 v16, v16, v19
	v_fma_f32 v19, v12, s3, -v17
	v_fmac_f32_e32 v17, 0x3f116cb1, v12
	v_add_f32_e32 v40, v22, v26
	v_mul_f32_e32 v22, 0x3e750f2a, v7
	v_add_f32_e32 v45, v45, v49
	v_add_f32_e32 v17, v17, v23
	v_fma_f32 v23, v12, s15, -v22
	v_add_f32_e32 v41, v41, v45
	v_add_f32_e32 v29, v23, v29
	v_mul_f32_e32 v23, 0x3e750f2a, v6
	v_fmac_f32_e32 v22, 0xbf788fa5, v12
	v_add_f32_e32 v37, v37, v41
	v_add_f32_e32 v41, v22, v27
	v_fma_f32 v22, v13, s15, -v23
	v_fmac_f32_e32 v24, 0x3f116cb1, v13
	v_add_f32_e32 v30, v22, v30
	v_mul_f32_e32 v22, 0x3eedf032, v7
	v_add_f32_e32 v42, v42, v46
	v_add_f32_e32 v28, v24, v28
	v_mov_b32_e32 v24, v23
	v_fma_f32 v23, v12, s6, -v22
	v_add_f32_e32 v38, v38, v42
	v_add_f32_e32 v33, v23, v33
	v_mul_f32_e32 v23, 0x3eedf032, v6
	v_fmac_f32_e32 v22, 0x3f62ad3f, v12
	v_add_f32_e32 v43, v43, v47
	v_add_f32_e32 v34, v34, v38
	;; [unrolled: 1-line block ×3, first 2 shown]
	v_fma_f32 v22, v13, s6, -v23
	v_mul_f32_e32 v7, 0xbf6f5d39, v7
	v_add_f32_e32 v39, v39, v43
	v_add_f32_e32 v43, v22, v34
	v_fma_f32 v22, v12, s7, -v7
	v_mul_f32_e32 v6, 0xbf6f5d39, v6
	v_fmac_f32_e32 v7, 0xbeb58ec6, v12
	v_add_f32_e32 v44, v22, v36
	v_mov_b32_e32 v22, v6
	v_add_f32_e32 v5, v7, v5
	v_fma_f32 v6, v13, s7, -v6
	v_add_f32_e32 v7, v3, v1
	v_sub_f32_e32 v1, v1, v3
	v_add_f32_e32 v4, v6, v4
	v_add_f32_e32 v6, v2, v0
	v_sub_f32_e32 v0, v0, v2
	v_mul_f32_e32 v2, 0xbe750f2a, v1
	v_fmac_f32_e32 v22, 0xbeb58ec6, v13
	v_fma_f32 v3, v6, s15, -v2
	v_add_f32_e32 v45, v22, v37
	v_add_f32_e32 v22, v3, v9
	v_mul_f32_e32 v3, 0xbe750f2a, v0
	v_fmac_f32_e32 v2, 0xbf788fa5, v6
	v_fmac_f32_e32 v24, 0xbf788fa5, v13
	v_add_f32_e32 v67, v2, v8
	v_fma_f32 v2, v7, s15, -v3
	v_add_f32_e32 v31, v24, v31
	v_mov_b32_e32 v24, v23
	v_add_f32_e32 v68, v2, v10
	v_mul_f32_e32 v2, 0x3eedf032, v1
	v_add_f32_e32 v35, v35, v39
	v_fmac_f32_e32 v24, 0x3f62ad3f, v13
	v_mov_b32_e32 v9, v3
	v_fma_f32 v3, v6, s6, -v2
	v_add_f32_e32 v42, v24, v35
	v_add_f32_e32 v24, v3, v15
	v_mul_f32_e32 v3, 0x3eedf032, v0
	v_fmac_f32_e32 v2, 0x3f62ad3f, v6
	v_add_f32_e32 v38, v2, v11
	v_fma_f32 v2, v7, s6, -v3
	v_add_f32_e32 v39, v2, v16
	v_mul_f32_e32 v2, 0xbf29c268, v1
	v_add_f32_e32 v19, v19, v25
	v_mov_b32_e32 v8, v3
	v_fma_f32 v3, v6, s14, -v2
	v_add_f32_e32 v26, v3, v19
	v_mul_f32_e32 v3, 0xbf29c268, v0
	v_fmac_f32_e32 v2, 0xbf3f9e67, v6
	v_fmac_f32_e32 v8, 0x3f62ad3f, v7
	v_add_f32_e32 v36, v2, v17
	v_fma_f32 v2, v7, s14, -v3
	v_add_f32_e32 v25, v8, v18
	v_mov_b32_e32 v8, v3
	v_add_f32_e32 v37, v2, v40
	v_mul_f32_e32 v2, 0x3f52af12, v1
	v_fmac_f32_e32 v8, 0xbf3f9e67, v7
	v_fma_f32 v3, v6, s3, -v2
	v_add_f32_e32 v27, v8, v28
	v_add_f32_e32 v28, v3, v29
	v_mul_f32_e32 v3, 0x3f52af12, v0
	v_fmac_f32_e32 v2, 0x3f116cb1, v6
	v_add_f32_e32 v34, v2, v41
	v_fma_f32 v2, v7, s3, -v3
	v_add_f32_e32 v35, v2, v30
	v_mul_f32_e32 v2, 0xbf6f5d39, v1
	v_mov_b32_e32 v8, v3
	v_fma_f32 v3, v6, s7, -v2
	v_add_f32_e32 v30, v3, v33
	v_mul_f32_e32 v3, 0xbf6f5d39, v0
	v_fmac_f32_e32 v2, 0xbeb58ec6, v6
	s_load_dwordx2 s[12:13], s[4:5], 0x8
	v_add_f32_e32 v32, v2, v32
	v_fma_f32 v2, v7, s7, -v3
	v_mul_f32_e32 v1, 0x3f7e222b, v1
	v_fmac_f32_e32 v8, 0x3f116cb1, v7
	v_add_f32_e32 v33, v2, v43
	v_fma_f32 v2, v6, s2, -v1
	v_mul_f32_e32 v0, 0x3f7e222b, v0
	v_add_f32_e32 v29, v8, v31
	v_mov_b32_e32 v8, v3
	v_add_f32_e32 v40, v2, v44
	v_mov_b32_e32 v2, v0
	v_fmac_f32_e32 v9, 0xbf788fa5, v7
	v_fmac_f32_e32 v8, 0xbeb58ec6, v7
	;; [unrolled: 1-line block ×4, first 2 shown]
	v_fma_f32 v0, v7, s2, -v0
	v_add_f32_e32 v23, v9, v14
	v_add_f32_e32 v31, v8, v42
	;; [unrolled: 1-line block ×5, first 2 shown]
	v_mul_lo_u16_e32 v73, 13, v70
	s_waitcnt lgkmcnt(0)
	s_barrier
	s_and_saveexec_b64 s[2:3], s[0:1]
	s_cbranch_execz .LBB0_7
; %bb.6:
	v_lshlrev_b32_e32 v0, 3, v73
	ds_write2_b64 v0, v[20:21], v[22:23] offset1:1
	ds_write2_b64 v0, v[24:25], v[26:27] offset0:2 offset1:3
	ds_write2_b64 v0, v[28:29], v[30:31] offset0:4 offset1:5
	;; [unrolled: 1-line block ×5, first 2 shown]
	ds_write_b64 v0, v[67:68] offset:96
.LBB0_7:
	s_or_b64 exec, exec, s[2:3]
	s_load_dwordx2 s[4:5], s[4:5], 0x20
	s_movk_i32 s2, 0x82
	v_cmp_gt_u16_e64 s[2:3], s2, v70
	s_waitcnt lgkmcnt(0)
	s_barrier
	s_and_saveexec_b64 s[6:7], s[2:3]
	s_cbranch_execz .LBB0_9
; %bb.8:
	v_add_u32_e32 v0, 0x800, v69
	ds_read2_b64 v[24:27], v0 offset0:4 offset1:134
	v_add_u32_e32 v0, 0x1000, v69
	ds_read2_b64 v[28:31], v0 offset0:8 offset1:138
	;; [unrolled: 2-line block ×3, first 2 shown]
	v_add_u32_e32 v0, 0x2000, v69
	ds_read2_b64 v[20:23], v69 offset1:130
	ds_read2_b64 v[32:35], v0 offset0:16 offset1:146
	ds_read_b64 v[36:37], v69 offset:10400
.LBB0_9:
	s_or_b64 exec, exec, s[6:7]
	s_movk_i32 s6, 0x4f
	v_mul_lo_u16_sdwa v0, v70, s6 dst_sel:DWORD dst_unused:UNUSED_PAD src0_sel:BYTE_0 src1_sel:DWORD
	v_lshrrev_b16_e32 v71, 10, v0
	v_mul_lo_u16_e32 v0, 13, v71
	v_sub_u16_e32 v0, v70, v0
	v_and_b32_e32 v72, 0xff, v0
	v_mul_u32_u24_e32 v0, 10, v72
	v_lshlrev_b32_e32 v44, 3, v0
	global_load_dwordx4 v[12:15], v44, s[12:13]
	global_load_dwordx4 v[4:7], v44, s[12:13] offset:16
	global_load_dwordx4 v[0:3], v44, s[12:13] offset:32
	;; [unrolled: 1-line block ×4, first 2 shown]
	s_mov_b32 s14, 0x3f575c64
	s_mov_b32 s15, 0x3ed4b147
	;; [unrolled: 1-line block ×5, first 2 shown]
	s_waitcnt vmcnt(0) lgkmcnt(0)
	s_barrier
	v_mul_f32_e32 v58, v23, v13
	v_mul_f32_e32 v44, v22, v13
	;; [unrolled: 1-line block ×10, first 2 shown]
	v_fma_f32 v58, v22, v12, -v58
	v_fmac_f32_e32 v44, v23, v12
	v_fmac_f32_e32 v51, v33, v10
	v_fma_f32 v33, v34, v16, -v62
	v_fma_f32 v34, v36, v18, -v63
	v_fmac_f32_e32 v55, v37, v18
	v_mul_f32_e32 v54, v27, v5
	v_mul_f32_e32 v46, v26, v5
	;; [unrolled: 1-line block ×3, first 2 shown]
	v_fma_f32 v52, v24, v14, -v52
	v_fmac_f32_e32 v45, v25, v14
	v_fmac_f32_e32 v53, v35, v16
	v_sub_f32_e32 v76, v58, v34
	v_sub_f32_e32 v63, v44, v55
	v_mul_f32_e32 v47, v28, v7
	v_mul_f32_e32 v57, v31, v1
	;; [unrolled: 1-line block ×6, first 2 shown]
	v_fma_f32 v54, v26, v4, -v54
	v_fmac_f32_e32 v46, v27, v4
	v_fmac_f32_e32 v49, v41, v2
	v_add_f32_e32 v26, v44, v55
	v_sub_f32_e32 v77, v52, v33
	v_sub_f32_e32 v65, v45, v53
	v_mul_f32_e32 v41, 0xbf0a6770, v63
	v_mul_f32_e32 v62, 0xbf0a6770, v76
	v_fmac_f32_e32 v47, v29, v6
	v_fma_f32 v57, v30, v0, -v57
	v_fmac_f32_e32 v48, v31, v0
	v_fma_f32 v31, v40, v2, -v59
	v_fma_f32 v40, v42, v8, -v60
	v_fmac_f32_e32 v50, v43, v8
	v_add_f32_e32 v22, v58, v34
	v_add_f32_e32 v27, v45, v53
	v_sub_f32_e32 v74, v46, v51
	v_mul_f32_e32 v60, 0xbf68dda4, v77
	v_mul_f32_e32 v43, 0xbf68dda4, v65
	v_fma_f32 v30, v26, s14, -v62
	v_mov_b32_e32 v36, v41
	v_mul_f32_e32 v56, v29, v7
	v_fma_f32 v32, v32, v10, -v61
	v_add_f32_e32 v23, v52, v33
	v_sub_f32_e32 v66, v47, v50
	v_mul_f32_e32 v59, 0xbf7d64f0, v74
	v_fma_f32 v35, v27, s15, -v60
	v_mov_b32_e32 v37, v43
	v_add_f32_e32 v30, v21, v30
	v_fmac_f32_e32 v36, 0x3f575c64, v22
	v_fma_f32 v56, v28, v6, -v56
	v_sub_f32_e32 v75, v54, v32
	v_add_f32_e32 v25, v54, v32
	v_mul_f32_e32 v42, 0xbf4178ce, v66
	v_mov_b32_e32 v80, v59
	v_fmac_f32_e32 v37, 0x3ed4b147, v23
	v_add_f32_e32 v30, v35, v30
	v_add_f32_e32 v35, v20, v36
	;; [unrolled: 1-line block ×4, first 2 shown]
	v_sub_f32_e32 v78, v56, v40
	v_mul_f32_e32 v61, 0xbf7d64f0, v75
	v_mov_b32_e32 v81, v42
	v_fmac_f32_e32 v80, 0xbe11bafb, v25
	v_add_f32_e32 v35, v37, v35
	v_add_f32_e32 v29, v47, v50
	v_fma_f32 v79, v28, s16, -v61
	v_fmac_f32_e32 v81, 0xbf27a4f4, v24
	v_add_f32_e32 v35, v80, v35
	v_mul_f32_e32 v80, 0xbf4178ce, v78
	v_sub_f32_e32 v82, v48, v49
	v_add_f32_e32 v30, v79, v30
	v_add_f32_e32 v36, v81, v35
	v_fma_f32 v35, v29, s17, -v80
	v_mul_f32_e32 v79, 0xbe903f40, v82
	v_sub_f32_e32 v83, v57, v31
	v_add_f32_e32 v37, v35, v30
	v_add_f32_e32 v30, v57, v31
	v_mov_b32_e32 v84, v79
	v_add_f32_e32 v35, v48, v49
	v_mul_f32_e32 v81, 0xbe903f40, v83
	v_fmac_f32_e32 v84, 0xbf75a155, v30
	v_fma_f32 v85, v35, s18, -v81
	v_add_f32_e32 v36, v84, v36
	v_add_f32_e32 v37, v85, v37
	s_and_saveexec_b64 s[6:7], s[2:3]
	s_cbranch_execz .LBB0_11
; %bb.10:
	v_mul_f32_e32 v86, 0xbf75a155, v26
	v_mov_b32_e32 v84, v86
	v_mul_f32_e32 v87, 0x3f575c64, v27
	v_fmac_f32_e32 v84, 0x3e903f40, v76
	v_mov_b32_e32 v85, v87
	v_add_f32_e32 v84, v21, v84
	v_fmac_f32_e32 v85, 0xbf0a6770, v77
	v_mul_f32_e32 v88, 0xbf27a4f4, v28
	v_add_f32_e32 v84, v85, v84
	v_mov_b32_e32 v85, v88
	v_fmac_f32_e32 v85, 0x3f4178ce, v75
	v_mul_f32_e32 v89, 0x3ed4b147, v29
	v_add_f32_e32 v84, v85, v84
	v_mov_b32_e32 v85, v89
	;; [unrolled: 4-line block ×4, first 2 shown]
	v_mul_f32_e32 v102, 0x3f0a6770, v65
	v_fmac_f32_e32 v84, 0xbf75a155, v22
	v_mov_b32_e32 v103, v102
	v_fmac_f32_e32 v86, 0xbe903f40, v76
	v_add_f32_e32 v84, v20, v84
	v_fmac_f32_e32 v103, 0x3f575c64, v23
	v_add_f32_e32 v86, v21, v86
	;; [unrolled: 2-line block ×3, first 2 shown]
	v_mul_f32_e32 v103, 0xbf4178ce, v74
	v_add_f32_e32 v86, v87, v86
	v_fmac_f32_e32 v88, 0xbf4178ce, v75
	v_mov_b32_e32 v104, v103
	v_add_f32_e32 v86, v88, v86
	v_fmac_f32_e32 v89, 0x3f68dda4, v78
	v_fmac_f32_e32 v104, 0xbf27a4f4, v25
	v_add_f32_e32 v86, v89, v86
	v_fmac_f32_e32 v90, 0xbf7d64f0, v83
	v_add_f32_e32 v84, v104, v84
	v_mul_f32_e32 v104, 0x3f68dda4, v66
	v_add_f32_e32 v87, v90, v86
	v_fma_f32 v86, v22, s18, -v91
	v_mov_b32_e32 v105, v104
	v_add_f32_e32 v86, v20, v86
	v_fma_f32 v88, v23, s14, -v102
	v_fmac_f32_e32 v105, 0x3ed4b147, v24
	v_add_f32_e32 v86, v88, v86
	v_fma_f32 v88, v25, s17, -v103
	v_add_f32_e32 v84, v105, v84
	v_mul_f32_e32 v105, 0xbf7d64f0, v82
	v_add_f32_e32 v86, v88, v86
	v_fma_f32 v88, v24, s15, -v104
	v_add_f32_e32 v86, v88, v86
	v_fma_f32 v88, v30, s16, -v105
	v_mul_f32_e32 v102, 0xbf4178ce, v76
	v_add_f32_e32 v86, v88, v86
	v_mov_b32_e32 v88, v102
	v_mul_f32_e32 v103, 0x3f7d64f0, v77
	v_fmac_f32_e32 v88, 0xbf27a4f4, v26
	v_mov_b32_e32 v89, v103
	v_add_f32_e32 v88, v21, v88
	v_fmac_f32_e32 v89, 0xbe11bafb, v27
	v_mul_f32_e32 v104, 0xbf0a6770, v75
	v_add_f32_e32 v88, v89, v88
	v_mov_b32_e32 v89, v104
	v_mov_b32_e32 v106, v105
	v_fmac_f32_e32 v89, 0x3f575c64, v28
	v_mul_f32_e32 v105, 0xbe903f40, v78
	v_fmac_f32_e32 v106, 0xbe11bafb, v30
	v_add_f32_e32 v88, v89, v88
	v_mov_b32_e32 v89, v105
	v_add_f32_e32 v84, v106, v84
	v_fmac_f32_e32 v89, 0xbf75a155, v29
	v_mul_f32_e32 v106, 0x3f68dda4, v83
	v_add_f32_e32 v88, v89, v88
	v_mov_b32_e32 v89, v106
	v_fmac_f32_e32 v89, 0x3ed4b147, v35
	v_mul_f32_e32 v107, 0xbf4178ce, v63
	v_add_f32_e32 v89, v89, v88
	v_fma_f32 v88, v22, s17, -v107
	v_mul_f32_e32 v108, 0x3f7d64f0, v65
	v_add_f32_e32 v88, v20, v88
	v_fma_f32 v90, v23, s16, -v108
	;; [unrolled: 3-line block ×5, first 2 shown]
	v_mul_f32_e32 v112, 0xbf7d64f0, v76
	v_add_f32_e32 v88, v90, v88
	v_mov_b32_e32 v90, v112
	v_mul_f32_e32 v113, 0x3e903f40, v77
	v_fmac_f32_e32 v90, 0xbe11bafb, v26
	v_mov_b32_e32 v91, v113
	v_add_f32_e32 v90, v21, v90
	v_fmac_f32_e32 v91, 0xbf75a155, v27
	v_mul_f32_e32 v114, 0x3f68dda4, v75
	v_add_f32_e32 v90, v91, v90
	v_mov_b32_e32 v91, v114
	v_fmac_f32_e32 v91, 0x3ed4b147, v28
	v_mul_f32_e32 v115, 0xbf0a6770, v78
	v_add_f32_e32 v90, v91, v90
	v_mov_b32_e32 v91, v115
	;; [unrolled: 4-line block ×3, first 2 shown]
	v_fmac_f32_e32 v91, 0xbf27a4f4, v35
	v_mul_f32_e32 v117, 0xbf7d64f0, v63
	v_mul_f32_e32 v92, 0x3f575c64, v22
	v_add_f32_e32 v91, v91, v90
	v_fma_f32 v90, v22, s16, -v117
	v_mul_f32_e32 v118, 0x3e903f40, v65
	v_mul_f32_e32 v94, 0x3ed4b147, v23
	v_add_f32_e32 v90, v20, v90
	v_fma_f32 v119, v23, s18, -v118
	v_sub_f32_e32 v41, v92, v41
	v_mul_f32_e32 v96, 0xbe11bafb, v25
	v_add_f32_e32 v90, v119, v90
	v_mul_f32_e32 v119, 0x3f68dda4, v74
	v_add_f32_e32 v41, v20, v41
	v_sub_f32_e32 v43, v94, v43
	v_mul_f32_e32 v98, 0xbf27a4f4, v24
	v_fma_f32 v120, v25, s15, -v119
	v_add_f32_e32 v41, v43, v41
	v_sub_f32_e32 v43, v96, v59
	v_mul_f32_e32 v100, 0xbf75a155, v30
	v_add_f32_e32 v90, v120, v90
	v_mul_f32_e32 v120, 0xbf0a6770, v66
	v_add_f32_e32 v41, v43, v41
	v_sub_f32_e32 v42, v98, v42
	v_fma_f32 v121, v24, s14, -v120
	v_add_f32_e32 v41, v42, v41
	v_sub_f32_e32 v42, v100, v79
	v_add_f32_e32 v90, v121, v90
	v_mul_f32_e32 v121, 0xbf4178ce, v82
	v_add_f32_e32 v59, v42, v41
	v_add_f32_e32 v42, v20, v58
	v_fma_f32 v122, v30, s17, -v121
	v_mul_f32_e32 v76, 0xbf68dda4, v76
	v_add_f32_e32 v42, v42, v52
	v_add_f32_e32 v90, v122, v90
	v_mov_b32_e32 v122, v76
	v_mul_f32_e32 v77, 0xbf4178ce, v77
	v_add_f32_e32 v42, v42, v54
	v_fmac_f32_e32 v122, 0x3ed4b147, v26
	v_mov_b32_e32 v123, v77
	v_add_f32_e32 v42, v42, v56
	v_add_f32_e32 v122, v21, v122
	v_fmac_f32_e32 v123, 0xbf27a4f4, v27
	v_add_f32_e32 v42, v42, v57
	v_add_f32_e32 v122, v123, v122
	v_mul_f32_e32 v123, 0x3e903f40, v75
	v_add_f32_e32 v31, v42, v31
	v_mov_b32_e32 v75, v123
	v_add_f32_e32 v31, v31, v40
	v_fmac_f32_e32 v75, 0xbf75a155, v28
	v_mul_f32_e32 v78, 0x3f7d64f0, v78
	v_add_f32_e32 v31, v31, v32
	v_add_f32_e32 v75, v75, v122
	v_mov_b32_e32 v122, v78
	v_add_f32_e32 v41, v21, v44
	v_add_f32_e32 v31, v31, v33
	v_fmac_f32_e32 v122, 0xbe11bafb, v29
	v_mul_f32_e32 v83, 0x3f0a6770, v83
	v_add_f32_e32 v41, v41, v45
	v_add_f32_e32 v40, v31, v34
	v_fma_f32 v31, v26, s17, -v102
	v_fma_f32 v33, v26, s16, -v112
	v_add_f32_e32 v75, v122, v75
	v_mov_b32_e32 v122, v83
	v_add_f32_e32 v41, v41, v46
	v_add_f32_e32 v31, v21, v31
	v_fma_f32 v32, v27, s16, -v103
	v_add_f32_e32 v33, v21, v33
	v_fma_f32 v34, v27, s18, -v113
	v_mul_f32_e32 v93, 0x3f575c64, v26
	v_fmac_f32_e32 v122, 0x3f575c64, v35
	v_mul_f32_e32 v63, 0xbf68dda4, v63
	v_add_f32_e32 v41, v41, v47
	v_add_f32_e32 v31, v32, v31
	v_fma_f32 v32, v28, s14, -v104
	v_add_f32_e32 v33, v34, v33
	v_fma_f32 v34, v28, s15, -v114
	v_mul_f32_e32 v95, 0x3ed4b147, v27
	v_add_f32_e32 v75, v122, v75
	v_fma_f32 v122, v22, s15, -v63
	v_mul_f32_e32 v65, 0xbf4178ce, v65
	v_add_f32_e32 v62, v62, v93
	v_add_f32_e32 v41, v41, v48
	;; [unrolled: 1-line block ×3, first 2 shown]
	v_fma_f32 v32, v29, s18, -v105
	v_add_f32_e32 v33, v34, v33
	v_fma_f32 v34, v29, s14, -v115
	v_mul_f32_e32 v97, 0xbe11bafb, v28
	v_add_f32_e32 v122, v20, v122
	v_fma_f32 v124, v23, s17, -v65
	v_add_f32_e32 v62, v21, v62
	v_add_f32_e32 v60, v60, v95
	;; [unrolled: 1-line block ×4, first 2 shown]
	v_fma_f32 v32, v35, s15, -v106
	v_fmac_f32_e32 v107, 0xbf27a4f4, v22
	v_add_f32_e32 v33, v34, v33
	v_fma_f32 v34, v35, s17, -v116
	v_fmac_f32_e32 v117, 0xbe11bafb, v22
	v_fma_f32 v26, v26, s15, -v76
	v_fmac_f32_e32 v63, 0x3ed4b147, v22
	v_mul_f32_e32 v99, 0xbf27a4f4, v29
	v_add_f32_e32 v122, v124, v122
	v_mul_f32_e32 v124, 0x3e903f40, v74
	v_add_f32_e32 v60, v60, v62
	v_add_f32_e32 v61, v61, v97
	;; [unrolled: 1-line block ×5, first 2 shown]
	v_fmac_f32_e32 v108, 0xbe11bafb, v23
	v_add_f32_e32 v34, v34, v33
	v_add_f32_e32 v33, v20, v117
	v_fmac_f32_e32 v118, 0xbf75a155, v23
	v_add_f32_e32 v21, v21, v26
	v_fma_f32 v26, v27, s17, -v77
	v_add_f32_e32 v20, v20, v63
	v_fmac_f32_e32 v65, 0xbf27a4f4, v23
	v_mul_f32_e32 v101, 0xbf75a155, v35
	v_fma_f32 v74, v25, s18, -v124
	v_mul_f32_e32 v66, 0x3f7d64f0, v66
	v_add_f32_e32 v60, v61, v60
	v_add_f32_e32 v61, v80, v99
	;; [unrolled: 1-line block ×4, first 2 shown]
	v_fmac_f32_e32 v109, 0x3f575c64, v25
	v_add_f32_e32 v33, v118, v33
	v_fmac_f32_e32 v119, 0x3ed4b147, v25
	v_add_f32_e32 v21, v26, v21
	v_fma_f32 v26, v28, s18, -v123
	v_add_f32_e32 v20, v65, v20
	v_fmac_f32_e32 v124, 0xbf75a155, v25
	v_add_f32_e32 v74, v74, v122
	v_fma_f32 v122, v24, s16, -v66
	v_mul_f32_e32 v82, 0x3f0a6770, v82
	v_add_f32_e32 v60, v61, v60
	v_add_f32_e32 v61, v81, v101
	;; [unrolled: 1-line block ×4, first 2 shown]
	v_fmac_f32_e32 v110, 0xbf75a155, v24
	v_add_f32_e32 v33, v119, v33
	v_fmac_f32_e32 v120, 0x3f575c64, v24
	v_add_f32_e32 v21, v26, v21
	v_fma_f32 v26, v29, s16, -v78
	v_add_f32_e32 v20, v124, v20
	v_fmac_f32_e32 v66, 0xbe11bafb, v24
	v_mul_u32_u24_e32 v22, 0x8f, v71
	v_add_f32_e32 v74, v122, v74
	v_fma_f32 v122, v30, s14, -v82
	v_add_f32_e32 v60, v61, v60
	v_add_f32_e32 v41, v41, v55
	;; [unrolled: 1-line block ×3, first 2 shown]
	v_fmac_f32_e32 v111, 0x3ed4b147, v30
	v_add_f32_e32 v33, v120, v33
	v_fmac_f32_e32 v121, 0xbf27a4f4, v30
	v_add_f32_e32 v21, v26, v21
	v_fma_f32 v26, v35, s14, -v83
	v_add_f32_e32 v20, v66, v20
	v_fmac_f32_e32 v82, 0x3f575c64, v30
	v_add_lshl_u32 v22, v22, v72, 3
	v_add_f32_e32 v74, v122, v74
	v_add_f32_e32 v31, v111, v31
	;; [unrolled: 1-line block ×5, first 2 shown]
	ds_write2_b64 v22, v[40:41], v[59:60] offset1:13
	ds_write2_b64 v22, v[74:75], v[90:91] offset0:26 offset1:39
	ds_write2_b64 v22, v[88:89], v[86:87] offset0:52 offset1:65
	;; [unrolled: 1-line block ×4, first 2 shown]
	ds_write_b64 v22, v[36:37] offset:1040
.LBB0_11:
	s_or_b64 exec, exec, s[6:7]
	v_mov_b32_e32 v21, s13
	s_movk_i32 s14, 0x48
	v_mov_b32_e32 v20, s12
	v_mad_u64_u32 v[40:41], s[12:13], v70, s14, v[20:21]
	s_load_dwordx4 s[4:7], s[4:5], 0x0
	s_waitcnt lgkmcnt(0)
	s_barrier
	global_load_dwordx4 v[32:35], v[40:41], off offset:1040
	global_load_dwordx4 v[28:31], v[40:41], off offset:1056
	;; [unrolled: 1-line block ×4, first 2 shown]
	global_load_dwordx2 v[65:66], v[40:41], off offset:1104
	ds_read2_b64 v[43:46], v69 offset1:143
	v_add_u32_e32 v40, 0x800, v69
	v_add_u32_e32 v41, 0x1000, v69
	;; [unrolled: 1-line block ×4, first 2 shown]
	ds_read2_b64 v[47:50], v40 offset0:30 offset1:173
	ds_read2_b64 v[51:54], v41 offset0:60 offset1:203
	;; [unrolled: 1-line block ×4, first 2 shown]
	s_mov_b32 s14, 0x3f737871
	s_mov_b32 s12, 0xbf737871
	;; [unrolled: 1-line block ×4, first 2 shown]
	s_waitcnt vmcnt(4) lgkmcnt(4)
	v_mul_f32_e32 v63, v46, v33
	s_waitcnt lgkmcnt(3)
	v_mul_f32_e32 v76, v48, v35
	v_mul_f32_e32 v75, v45, v33
	;; [unrolled: 1-line block ×3, first 2 shown]
	s_waitcnt vmcnt(3)
	v_mul_f32_e32 v78, v50, v29
	s_waitcnt lgkmcnt(2)
	v_mul_f32_e32 v80, v52, v31
	s_waitcnt vmcnt(2)
	v_mul_f32_e32 v82, v54, v25
	s_waitcnt lgkmcnt(1)
	v_mul_f32_e32 v84, v56, v27
	s_waitcnt vmcnt(1) lgkmcnt(0)
	v_mul_f32_e32 v88, v60, v23
	v_fma_f32 v63, v45, v32, -v63
	v_fma_f32 v45, v47, v34, -v76
	v_mul_f32_e32 v79, v49, v29
	v_mul_f32_e32 v81, v51, v31
	;; [unrolled: 1-line block ×3, first 2 shown]
	v_fmac_f32_e32 v75, v46, v32
	v_fmac_f32_e32 v77, v48, v34
	v_fma_f32 v46, v49, v28, -v78
	v_fma_f32 v47, v51, v30, -v80
	;; [unrolled: 1-line block ×5, first 2 shown]
	v_add_f32_e32 v53, v43, v45
	v_mul_f32_e32 v85, v55, v27
	v_mul_f32_e32 v89, v59, v23
	s_waitcnt vmcnt(0)
	v_mul_f32_e32 v91, v61, v66
	v_fmac_f32_e32 v83, v54, v24
	v_add_f32_e32 v54, v47, v49
	v_add_f32_e32 v59, v45, v51
	;; [unrolled: 1-line block ×3, first 2 shown]
	v_mul_f32_e32 v86, v58, v21
	v_mul_f32_e32 v87, v57, v21
	;; [unrolled: 1-line block ×3, first 2 shown]
	v_fmac_f32_e32 v81, v52, v30
	v_fmac_f32_e32 v85, v56, v26
	;; [unrolled: 1-line block ×3, first 2 shown]
	v_add_f32_e32 v62, v44, v77
	v_fma_f32 v76, -0.5, v54, v43
	v_fma_f32 v43, -0.5, v59, v43
	v_add_f32_e32 v53, v53, v49
	v_fmac_f32_e32 v79, v50, v28
	v_fma_f32 v50, v57, v20, -v86
	v_fmac_f32_e32 v87, v58, v20
	v_fmac_f32_e32 v89, v60, v22
	v_sub_f32_e32 v56, v81, v85
	v_sub_f32_e32 v57, v45, v47
	;; [unrolled: 1-line block ×3, first 2 shown]
	v_mov_b32_e32 v59, v43
	v_add_f32_e32 v78, v53, v51
	v_add_f32_e32 v53, v62, v81
	v_sub_f32_e32 v55, v77, v89
	v_add_f32_e32 v54, v57, v58
	v_mov_b32_e32 v58, v76
	v_fmac_f32_e32 v43, 0x3f737871, v56
	v_fmac_f32_e32 v59, 0xbf737871, v56
	v_add_f32_e32 v53, v53, v85
	v_fmac_f32_e32 v76, 0xbf737871, v55
	v_fmac_f32_e32 v58, 0x3f737871, v55
	v_fmac_f32_e32 v43, 0xbf167918, v55
	v_fmac_f32_e32 v59, 0x3f167918, v55
	v_add_f32_e32 v55, v53, v89
	v_add_f32_e32 v53, v81, v85
	v_fma_f32 v80, -0.5, v53, v44
	v_fma_f32 v52, v61, v65, -v90
	v_sub_f32_e32 v60, v47, v45
	v_sub_f32_e32 v61, v49, v51
	;; [unrolled: 1-line block ×3, first 2 shown]
	v_mov_b32_e32 v51, v80
	v_fmac_f32_e32 v51, 0xbf737871, v45
	v_sub_f32_e32 v47, v47, v49
	v_sub_f32_e32 v49, v77, v81
	;; [unrolled: 1-line block ×3, first 2 shown]
	v_fmac_f32_e32 v80, 0x3f737871, v45
	v_fmac_f32_e32 v51, 0xbf167918, v47
	v_add_f32_e32 v49, v49, v53
	v_fmac_f32_e32 v80, 0x3f167918, v47
	v_add_f32_e32 v57, v60, v61
	v_fmac_f32_e32 v51, 0x3e9e377a, v49
	v_fmac_f32_e32 v80, 0x3e9e377a, v49
	v_add_f32_e32 v49, v77, v89
	v_fmac_f32_e32 v43, 0x3e9e377a, v57
	v_fmac_f32_e32 v59, 0x3e9e377a, v57
	v_fma_f32 v57, -0.5, v49, v44
	v_mov_b32_e32 v82, v57
	v_fmac_f32_e32 v82, 0x3f737871, v47
	v_sub_f32_e32 v44, v81, v77
	v_sub_f32_e32 v49, v85, v89
	v_fmac_f32_e32 v57, 0xbf737871, v47
	v_fmac_f32_e32 v82, 0xbf167918, v45
	v_add_f32_e32 v44, v44, v49
	v_fmac_f32_e32 v57, 0x3f167918, v45
	v_fmac_f32_e32 v82, 0x3e9e377a, v44
	;; [unrolled: 1-line block ×3, first 2 shown]
	v_add_f32_e32 v44, v63, v46
	v_add_f32_e32 v44, v44, v48
	;; [unrolled: 1-line block ×5, first 2 shown]
	v_fma_f32 v53, -0.5, v44, v63
	v_fmac_f32_e32 v76, 0xbf167918, v56
	v_fmac_f32_e32 v58, 0x3f167918, v56
	v_sub_f32_e32 v44, v79, v91
	v_mov_b32_e32 v47, v53
	v_fmac_f32_e32 v76, 0x3e9e377a, v54
	v_fmac_f32_e32 v58, 0x3e9e377a, v54
	;; [unrolled: 1-line block ×3, first 2 shown]
	v_sub_f32_e32 v45, v83, v87
	v_sub_f32_e32 v54, v46, v48
	;; [unrolled: 1-line block ×3, first 2 shown]
	v_fmac_f32_e32 v53, 0xbf737871, v44
	v_fmac_f32_e32 v47, 0x3f167918, v45
	v_add_f32_e32 v54, v54, v56
	v_fmac_f32_e32 v53, 0xbf167918, v45
	v_fmac_f32_e32 v47, 0x3e9e377a, v54
	;; [unrolled: 1-line block ×3, first 2 shown]
	v_add_f32_e32 v54, v46, v52
	v_fmac_f32_e32 v63, -0.5, v54
	v_mov_b32_e32 v54, v63
	v_fmac_f32_e32 v54, 0xbf737871, v45
	v_fmac_f32_e32 v63, 0x3f737871, v45
	;; [unrolled: 1-line block ×4, first 2 shown]
	v_add_f32_e32 v44, v75, v79
	v_add_f32_e32 v44, v44, v83
	v_sub_f32_e32 v56, v48, v46
	v_sub_f32_e32 v60, v50, v52
	v_add_f32_e32 v44, v44, v87
	v_add_f32_e32 v56, v56, v60
	;; [unrolled: 1-line block ×4, first 2 shown]
	v_fmac_f32_e32 v54, 0x3e9e377a, v56
	v_fmac_f32_e32 v63, 0x3e9e377a, v56
	v_fma_f32 v56, -0.5, v44, v75
	v_sub_f32_e32 v44, v46, v52
	v_mov_b32_e32 v61, v56
	v_fmac_f32_e32 v61, 0xbf737871, v44
	v_sub_f32_e32 v45, v48, v50
	v_sub_f32_e32 v46, v79, v83
	;; [unrolled: 1-line block ×3, first 2 shown]
	v_fmac_f32_e32 v56, 0x3f737871, v44
	v_fmac_f32_e32 v61, 0xbf167918, v45
	v_add_f32_e32 v46, v46, v48
	v_fmac_f32_e32 v56, 0x3f167918, v45
	v_fmac_f32_e32 v61, 0x3e9e377a, v46
	;; [unrolled: 1-line block ×3, first 2 shown]
	v_add_f32_e32 v46, v79, v91
	v_fmac_f32_e32 v75, -0.5, v46
	v_mov_b32_e32 v48, v75
	v_fmac_f32_e32 v48, 0x3f737871, v45
	v_sub_f32_e32 v46, v83, v79
	v_sub_f32_e32 v50, v87, v91
	v_fmac_f32_e32 v75, 0xbf737871, v45
	v_fmac_f32_e32 v48, 0xbf167918, v44
	v_add_f32_e32 v46, v46, v50
	v_fmac_f32_e32 v75, 0x3f167918, v44
	v_fmac_f32_e32 v48, 0x3e9e377a, v46
	;; [unrolled: 1-line block ×3, first 2 shown]
	v_mul_f32_e32 v85, 0xbf737871, v54
	v_mul_f32_e32 v79, 0x3f737871, v48
	;; [unrolled: 1-line block ×3, first 2 shown]
	v_fmac_f32_e32 v85, 0x3e9e377a, v48
	v_mul_f32_e32 v48, 0x3e9e377a, v75
	v_mul_f32_e32 v50, 0x3f167918, v61
	v_fma_f32 v81, v75, s14, -v45
	v_mul_f32_e32 v45, 0x3f4f1bbd, v53
	v_mul_f32_e32 v84, 0xbf167918, v47
	v_fma_f32 v75, v63, s12, -v48
	v_mul_f32_e32 v48, 0x3f4f1bbd, v56
	v_fmac_f32_e32 v50, 0x3f4f1bbd, v47
	v_fmac_f32_e32 v79, 0x3e9e377a, v54
	v_fma_f32 v83, v56, s15, -v45
	v_fmac_f32_e32 v84, 0x3f4f1bbd, v61
	v_fma_f32 v86, v53, s13, -v48
	v_add_f32_e32 v44, v78, v49
	v_add_f32_e32 v46, v58, v50
	;; [unrolled: 1-line block ×10, first 2 shown]
	v_sub_f32_e32 v54, v78, v49
	v_sub_f32_e32 v48, v58, v50
	;; [unrolled: 1-line block ×10, first 2 shown]
	ds_write2_b64 v69, v[44:45], v[46:47] offset1:143
	ds_write2_b64 v40, v[60:61], v[62:63] offset0:30 offset1:173
	ds_write2_b64 v41, v[52:53], v[54:55] offset0:60 offset1:203
	;; [unrolled: 1-line block ×4, first 2 shown]
	s_waitcnt lgkmcnt(0)
	s_barrier
	s_and_saveexec_b64 s[12:13], s[0:1]
	s_cbranch_execz .LBB0_13
; %bb.12:
	v_mov_b32_e32 v43, s11
	v_add_co_u32_e32 v80, vcc, s10, v69
	v_addc_co_u32_e32 v43, vcc, 0, v43, vcc
	v_add_co_u32_e32 v74, vcc, 0x2cb0, v80
	v_addc_co_u32_e32 v75, vcc, 0, v43, vcc
	;; [unrolled: 2-line block ×3, first 2 shown]
	global_load_dwordx2 v[78:79], v[76:77], off offset:3248
	global_load_dwordx2 v[94:95], v[74:75], off offset:880
	;; [unrolled: 1-line block ×5, first 2 shown]
	s_movk_i32 s14, 0x3000
	v_add_co_u32_e32 v74, vcc, s14, v80
	v_addc_co_u32_e32 v75, vcc, 0, v43, vcc
	s_movk_i32 s14, 0x4000
	global_load_dwordx2 v[102:103], v[74:75], off offset:3552
	v_add_co_u32_e32 v74, vcc, s14, v80
	v_addc_co_u32_e32 v75, vcc, 0, v43, vcc
	global_load_dwordx2 v[104:105], v[74:75], off offset:336
	global_load_dwordx2 v[106:107], v[74:75], off offset:1216
	;; [unrolled: 1-line block ×5, first 2 shown]
	s_movk_i32 s14, 0x5000
	v_add_co_u32_e32 v74, vcc, s14, v80
	v_addc_co_u32_e32 v75, vcc, 0, v43, vcc
	global_load_dwordx2 v[114:115], v[74:75], off offset:640
	global_load_dwordx2 v[116:117], v[74:75], off offset:1520
	ds_read_b64 v[74:75], v69
	v_add_u32_e32 v120, 0x1c00, v69
	s_waitcnt vmcnt(12) lgkmcnt(0)
	v_mul_f32_e32 v43, v75, v79
	v_mul_f32_e32 v77, v74, v79
	v_fma_f32 v76, v74, v78, -v43
	v_fmac_f32_e32 v77, v75, v78
	ds_write_b64 v69, v[76:77]
	ds_read2_b64 v[74:77], v69 offset0:110 offset1:220
	ds_read2_b64 v[78:81], v40 offset0:74 offset1:184
	;; [unrolled: 1-line block ×5, first 2 shown]
	s_waitcnt vmcnt(11) lgkmcnt(4)
	v_mul_f32_e32 v43, v75, v95
	v_mul_f32_e32 v119, v74, v95
	s_waitcnt vmcnt(10)
	v_mul_f32_e32 v121, v77, v97
	v_mul_f32_e32 v95, v76, v97
	s_waitcnt vmcnt(9) lgkmcnt(3)
	v_mul_f32_e32 v122, v79, v99
	v_mul_f32_e32 v97, v78, v99
	s_waitcnt vmcnt(8)
	v_mul_f32_e32 v123, v81, v101
	v_mul_f32_e32 v99, v80, v101
	;; [unrolled: 6-line block ×4, first 2 shown]
	v_fma_f32 v118, v74, v94, -v43
	v_fmac_f32_e32 v119, v75, v94
	v_fma_f32 v94, v76, v96, -v121
	v_fmac_f32_e32 v95, v77, v96
	;; [unrolled: 2-line block ×8, first 2 shown]
	ds_write2_b64 v69, v[118:119], v[94:95] offset0:110 offset1:220
	ds_write2_b64 v40, v[96:97], v[98:99] offset0:74 offset1:184
	;; [unrolled: 1-line block ×4, first 2 shown]
	v_add_u32_e32 v76, 0x2400, v69
	ds_read2_b64 v[40:43], v76 offset0:58 offset1:168
	s_waitcnt vmcnt(3) lgkmcnt(5)
	v_mul_f32_e32 v128, v91, v111
	v_mul_f32_e32 v109, v90, v111
	s_waitcnt vmcnt(2)
	v_mul_f32_e32 v74, v93, v113
	v_mul_f32_e32 v75, v92, v113
	v_fma_f32 v108, v90, v110, -v128
	v_fmac_f32_e32 v109, v91, v110
	v_fma_f32 v74, v92, v112, -v74
	v_fmac_f32_e32 v75, v93, v112
	ds_write2_b64 v120, v[108:109], v[74:75] offset0:94 offset1:204
	s_waitcnt vmcnt(1) lgkmcnt(1)
	v_mul_f32_e32 v74, v41, v115
	v_mul_f32_e32 v75, v40, v115
	v_fma_f32 v74, v40, v114, -v74
	v_fmac_f32_e32 v75, v41, v114
	s_waitcnt vmcnt(0)
	v_mul_f32_e32 v40, v43, v117
	v_mul_f32_e32 v41, v42, v117
	v_fma_f32 v40, v42, v116, -v40
	v_fmac_f32_e32 v41, v43, v116
	ds_write2_b64 v76, v[74:75], v[40:41] offset0:58 offset1:168
.LBB0_13:
	s_or_b64 exec, exec, s[12:13]
	s_waitcnt lgkmcnt(0)
	s_barrier
	s_and_saveexec_b64 s[12:13], s[0:1]
	s_cbranch_execz .LBB0_15
; %bb.14:
	v_add_u32_e32 v36, 0x400, v69
	ds_read2_b64 v[60:63], v36 offset0:92 offset1:202
	v_add_u32_e32 v36, 0xc00, v69
	ds_read2_b64 v[52:55], v36 offset0:56 offset1:166
	v_add_u32_e32 v36, 0x1400, v69
	ds_read2_b64 v[48:51], v36 offset0:20 offset1:130
	v_add_u32_e32 v36, 0x1800, v69
	ds_read2_b64 v[56:59], v36 offset0:112 offset1:222
	v_add_u32_e32 v36, 0x2000, v69
	ds_read2_b64 v[44:47], v69 offset1:110
	ds_read2_b64 v[36:39], v36 offset0:76 offset1:186
	ds_read_b64 v[67:68], v69 offset:10560
.LBB0_15:
	s_or_b64 exec, exec, s[12:13]
	s_waitcnt lgkmcnt(0)
	v_sub_f32_e32 v43, v47, v68
	v_mul_f32_e32 v74, 0xbf52af12, v43
	v_add_f32_e32 v76, v67, v46
	v_mov_b32_e32 v75, v74
	v_sub_f32_e32 v42, v46, v67
	v_fmac_f32_e32 v75, 0x3f116cb1, v76
	v_add_f32_e32 v40, v46, v44
	v_add_f32_e32 v77, v68, v47
	s_mov_b32 s13, 0x3f116cb1
	v_add_f32_e32 v79, v44, v75
	v_mul_f32_e32 v75, 0xbf52af12, v42
	v_add_f32_e32 v40, v60, v40
	v_fma_f32 v78, v77, s13, -v75
	v_add_f32_e32 v40, v62, v40
	v_add_f32_e32 v82, v45, v78
	v_mul_f32_e32 v78, 0xbf7e222b, v43
	v_add_f32_e32 v40, v52, v40
	v_mov_b32_e32 v80, v78
	v_add_f32_e32 v40, v54, v40
	s_mov_b32 s12, 0x3df6dbef
	v_fmac_f32_e32 v80, 0x3df6dbef, v76
	v_add_f32_e32 v40, v48, v40
	v_add_f32_e32 v83, v44, v80
	v_mul_f32_e32 v80, 0x3df6dbef, v77
	v_fma_f32 v78, v76, s12, -v78
	v_add_f32_e32 v41, v47, v45
	v_add_f32_e32 v40, v50, v40
	v_mov_b32_e32 v81, v80
	v_add_f32_e32 v85, v44, v78
	v_fmac_f32_e32 v80, 0xbf7e222b, v42
	v_mul_f32_e32 v78, 0xbf6f5d39, v43
	v_add_f32_e32 v41, v61, v41
	v_add_f32_e32 v40, v56, v40
	;; [unrolled: 1-line block ×3, first 2 shown]
	v_mov_b32_e32 v80, v78
	v_add_f32_e32 v41, v63, v41
	v_add_f32_e32 v40, v58, v40
	s_mov_b32 s14, 0xbeb58ec6
	v_fmac_f32_e32 v80, 0xbeb58ec6, v76
	v_add_f32_e32 v41, v53, v41
	v_add_f32_e32 v40, v36, v40
	v_fmac_f32_e32 v81, 0x3f7e222b, v42
	v_add_f32_e32 v87, v44, v80
	v_mul_f32_e32 v80, 0xbeb58ec6, v77
	v_fma_f32 v78, v76, s14, -v78
	v_add_f32_e32 v41, v55, v41
	v_add_f32_e32 v40, v38, v40
	;; [unrolled: 1-line block ×3, first 2 shown]
	v_mov_b32_e32 v81, v80
	v_add_f32_e32 v89, v44, v78
	v_fmac_f32_e32 v80, 0xbf6f5d39, v42
	v_mul_f32_e32 v78, 0xbf29c268, v43
	s_mov_b32 s16, 0xbf3f9e67
	v_add_f32_e32 v41, v49, v41
	v_add_f32_e32 v40, v67, v40
	v_mul_f32_e32 v67, 0xbeedf032, v43
	v_add_f32_e32 v90, v45, v80
	v_mov_b32_e32 v80, v78
	v_fma_f32 v78, v76, s16, -v78
	v_mul_f32_e32 v43, 0xbe750f2a, v43
	v_add_f32_e32 v41, v51, v41
	v_fmac_f32_e32 v80, 0xbf3f9e67, v76
	v_add_f32_e32 v93, v44, v78
	v_mov_b32_e32 v78, v43
	v_add_f32_e32 v41, v57, v41
	v_fmac_f32_e32 v81, 0x3f6f5d39, v42
	v_add_f32_e32 v91, v44, v80
	v_mul_f32_e32 v80, 0xbf3f9e67, v77
	v_fmac_f32_e32 v78, 0xbf788fa5, v76
	v_add_f32_e32 v41, v59, v41
	v_add_f32_e32 v88, v45, v81
	v_mov_b32_e32 v81, v80
	v_fmac_f32_e32 v80, 0xbf29c268, v42
	v_add_f32_e32 v95, v44, v78
	v_mul_f32_e32 v78, 0xbf788fa5, v77
	v_add_f32_e32 v41, v37, v41
	v_fmac_f32_e32 v81, 0x3f29c268, v42
	v_add_f32_e32 v94, v45, v80
	v_mov_b32_e32 v80, v78
	v_add_f32_e32 v41, v39, v41
	v_add_f32_e32 v92, v45, v81
	v_fmac_f32_e32 v80, 0x3e750f2a, v42
	v_add_f32_e32 v81, v39, v61
	v_sub_f32_e32 v39, v61, v39
	v_mov_b32_e32 v46, v67
	v_add_f32_e32 v96, v45, v80
	v_add_f32_e32 v80, v38, v60
	v_sub_f32_e32 v38, v60, v38
	v_mul_f32_e32 v60, 0xbf52af12, v39
	v_fmac_f32_e32 v46, 0x3f62ad3f, v76
	v_mov_b32_e32 v61, v60
	v_add_f32_e32 v41, v68, v41
	s_mov_b32 s15, 0x3f62ad3f
	v_add_f32_e32 v46, v44, v46
	v_mul_f32_e32 v68, 0xbeedf032, v42
	v_fmac_f32_e32 v61, 0x3f116cb1, v80
	v_fma_f32 v47, v77, s15, -v68
	v_fmac_f32_e32 v78, 0xbe750f2a, v42
	v_add_f32_e32 v46, v61, v46
	v_mul_f32_e32 v61, 0xbf52af12, v38
	v_add_f32_e32 v47, v45, v47
	v_add_f32_e32 v42, v45, v78
	v_fma_f32 v78, v81, s13, -v61
	v_add_f32_e32 v47, v78, v47
	v_mul_f32_e32 v78, 0xbf6f5d39, v39
	v_mov_b32_e32 v97, v78
	v_fmac_f32_e32 v97, 0xbeb58ec6, v80
	v_add_f32_e32 v97, v97, v79
	v_mul_f32_e32 v79, 0xbf6f5d39, v38
	v_fma_f32 v98, v81, s14, -v79
	v_add_f32_e32 v98, v98, v82
	v_mul_f32_e32 v82, 0xbe750f2a, v39
	v_mov_b32_e32 v99, v82
	s_mov_b32 s17, 0xbf788fa5
	v_fmac_f32_e32 v99, 0xbf788fa5, v80
	v_add_f32_e32 v99, v99, v83
	v_mul_f32_e32 v83, 0xbf788fa5, v81
	v_fma_f32 v82, v80, s17, -v82
	v_mov_b32_e32 v100, v83
	v_add_f32_e32 v101, v82, v85
	v_fmac_f32_e32 v83, 0xbe750f2a, v38
	v_mul_f32_e32 v82, 0x3f29c268, v39
	v_add_f32_e32 v86, v83, v86
	v_mov_b32_e32 v83, v82
	v_fmac_f32_e32 v83, 0xbf3f9e67, v80
	v_fmac_f32_e32 v100, 0x3e750f2a, v38
	v_add_f32_e32 v87, v83, v87
	v_mul_f32_e32 v83, 0xbf3f9e67, v81
	v_fma_f32 v82, v80, s16, -v82
	v_add_f32_e32 v100, v100, v84
	v_mov_b32_e32 v84, v83
	v_add_f32_e32 v89, v82, v89
	v_fmac_f32_e32 v83, 0x3f29c268, v38
	v_mul_f32_e32 v82, 0x3f7e222b, v39
	v_add_f32_e32 v90, v83, v90
	v_mov_b32_e32 v83, v82
	v_fmac_f32_e32 v83, 0x3df6dbef, v80
	v_fma_f32 v82, v80, s12, -v82
	v_mul_f32_e32 v39, 0x3eedf032, v39
	v_fmac_f32_e32 v84, 0xbf29c268, v38
	v_add_f32_e32 v91, v83, v91
	v_mul_f32_e32 v83, 0x3df6dbef, v81
	v_add_f32_e32 v93, v82, v93
	v_mov_b32_e32 v82, v39
	v_add_f32_e32 v88, v84, v88
	v_mov_b32_e32 v84, v83
	v_fmac_f32_e32 v82, 0x3f62ad3f, v80
	v_fmac_f32_e32 v84, 0xbf7e222b, v38
	;; [unrolled: 1-line block ×3, first 2 shown]
	v_add_f32_e32 v95, v82, v95
	v_mul_f32_e32 v82, 0x3f62ad3f, v81
	v_add_f32_e32 v85, v37, v63
	v_sub_f32_e32 v37, v63, v37
	v_add_f32_e32 v92, v84, v92
	v_add_f32_e32 v94, v83, v94
	v_mov_b32_e32 v83, v82
	v_fmac_f32_e32 v82, 0x3eedf032, v38
	v_add_f32_e32 v84, v36, v62
	v_sub_f32_e32 v36, v62, v36
	v_mul_f32_e32 v62, 0xbf7e222b, v37
	v_fmac_f32_e32 v83, 0xbeedf032, v38
	v_add_f32_e32 v38, v82, v42
	v_mov_b32_e32 v42, v62
	v_fma_f32 v43, v76, s17, -v43
	v_fmac_f32_e32 v42, 0x3df6dbef, v84
	v_mul_f32_e32 v82, 0xbe750f2a, v37
	v_add_f32_e32 v43, v44, v43
	v_fma_f32 v39, v80, s15, -v39
	v_add_f32_e32 v42, v42, v46
	v_mul_f32_e32 v63, 0xbf7e222b, v36
	v_mov_b32_e32 v46, v82
	v_add_f32_e32 v96, v83, v96
	v_add_f32_e32 v39, v39, v43
	v_fma_f32 v43, v85, s12, -v63
	v_fmac_f32_e32 v46, 0xbf788fa5, v84
	v_mul_f32_e32 v83, 0xbe750f2a, v36
	v_add_f32_e32 v43, v43, v47
	v_add_f32_e32 v46, v46, v97
	v_fma_f32 v47, v85, s17, -v83
	v_mul_f32_e32 v97, 0x3f6f5d39, v37
	v_add_f32_e32 v47, v47, v98
	v_mov_b32_e32 v98, v97
	v_fmac_f32_e32 v98, 0xbeb58ec6, v84
	v_add_f32_e32 v98, v98, v99
	v_mul_f32_e32 v99, 0xbeb58ec6, v85
	v_mov_b32_e32 v102, v99
	v_fmac_f32_e32 v99, 0x3f6f5d39, v36
	v_fma_f32 v97, v84, s14, -v97
	v_add_f32_e32 v99, v99, v86
	v_mul_f32_e32 v86, 0x3eedf032, v37
	v_add_f32_e32 v97, v97, v101
	v_mov_b32_e32 v101, v86
	v_fmac_f32_e32 v101, 0x3f62ad3f, v84
	v_fmac_f32_e32 v102, 0xbf6f5d39, v36
	v_add_f32_e32 v101, v101, v87
	v_mul_f32_e32 v87, 0x3f62ad3f, v85
	v_fma_f32 v86, v84, s15, -v86
	v_add_f32_e32 v100, v102, v100
	v_mov_b32_e32 v102, v87
	v_add_f32_e32 v103, v86, v89
	v_fmac_f32_e32 v87, 0x3eedf032, v36
	v_mul_f32_e32 v86, 0xbf52af12, v37
	v_add_f32_e32 v104, v87, v90
	v_mov_b32_e32 v87, v86
	v_fma_f32 v86, v84, s13, -v86
	v_mul_f32_e32 v37, 0xbf29c268, v37
	v_fmac_f32_e32 v87, 0x3f116cb1, v84
	v_add_f32_e32 v93, v86, v93
	v_mov_b32_e32 v86, v37
	v_fmac_f32_e32 v102, 0xbeedf032, v36
	v_add_f32_e32 v105, v87, v91
	v_mul_f32_e32 v87, 0x3f116cb1, v85
	v_fmac_f32_e32 v86, 0xbf3f9e67, v84
	v_add_f32_e32 v102, v102, v88
	v_mov_b32_e32 v88, v87
	v_fmac_f32_e32 v87, 0xbf52af12, v36
	v_add_f32_e32 v95, v86, v95
	v_mul_f32_e32 v86, 0xbf3f9e67, v85
	v_fma_f32 v37, v84, s16, -v37
	v_add_f32_e32 v94, v87, v94
	v_mov_b32_e32 v87, v86
	v_add_f32_e32 v37, v37, v39
	v_fmac_f32_e32 v86, 0xbf29c268, v36
	v_sub_f32_e32 v39, v53, v59
	v_fmac_f32_e32 v88, 0x3f52af12, v36
	v_fmac_f32_e32 v87, 0x3f29c268, v36
	v_add_f32_e32 v36, v86, v38
	v_mul_f32_e32 v86, 0xbf6f5d39, v39
	v_add_f32_e32 v90, v58, v52
	v_sub_f32_e32 v38, v52, v58
	v_mov_b32_e32 v52, v86
	v_add_f32_e32 v96, v87, v96
	v_add_f32_e32 v91, v59, v53
	v_fmac_f32_e32 v52, 0xbeb58ec6, v90
	v_mul_f32_e32 v87, 0xbf6f5d39, v38
	v_add_f32_e32 v92, v88, v92
	v_add_f32_e32 v42, v52, v42
	v_fma_f32 v52, v91, s14, -v87
	v_mul_f32_e32 v88, 0x3f29c268, v39
	v_add_f32_e32 v43, v52, v43
	v_mov_b32_e32 v52, v88
	v_fmac_f32_e32 v52, 0xbf3f9e67, v90
	v_mul_f32_e32 v89, 0x3f29c268, v38
	v_add_f32_e32 v46, v52, v46
	v_fma_f32 v52, v91, s16, -v89
	v_add_f32_e32 v47, v52, v47
	v_mul_f32_e32 v52, 0x3eedf032, v39
	v_mov_b32_e32 v53, v52
	v_fma_f32 v52, v90, s15, -v52
	v_fmac_f32_e32 v53, 0x3f62ad3f, v90
	v_mul_f32_e32 v58, 0x3f62ad3f, v91
	v_add_f32_e32 v52, v52, v97
	v_mul_f32_e32 v97, 0xbf7e222b, v39
	v_add_f32_e32 v53, v53, v98
	v_mov_b32_e32 v59, v58
	v_fmac_f32_e32 v58, 0x3eedf032, v38
	v_mov_b32_e32 v98, v97
	v_fmac_f32_e32 v59, 0xbeedf032, v38
	v_add_f32_e32 v58, v58, v99
	v_fmac_f32_e32 v98, 0x3df6dbef, v90
	v_mul_f32_e32 v99, 0x3df6dbef, v91
	v_fma_f32 v97, v90, s12, -v97
	v_add_f32_e32 v59, v59, v100
	v_add_f32_e32 v98, v98, v101
	v_mov_b32_e32 v100, v99
	v_add_f32_e32 v101, v97, v103
	v_fmac_f32_e32 v99, 0xbf7e222b, v38
	v_mul_f32_e32 v103, 0xbf788fa5, v91
	v_fmac_f32_e32 v100, 0x3f7e222b, v38
	v_add_f32_e32 v99, v99, v104
	v_mul_f32_e32 v97, 0x3e750f2a, v39
	v_mov_b32_e32 v104, v103
	v_add_f32_e32 v100, v100, v102
	v_mov_b32_e32 v102, v97
	v_fmac_f32_e32 v104, 0xbe750f2a, v38
	v_fmac_f32_e32 v102, 0xbf788fa5, v90
	v_add_f32_e32 v104, v104, v92
	v_fma_f32 v92, v90, s17, -v97
	v_mul_f32_e32 v39, 0x3f52af12, v39
	v_add_f32_e32 v102, v102, v105
	v_add_f32_e32 v105, v92, v93
	v_mov_b32_e32 v92, v39
	v_fmac_f32_e32 v92, 0x3f116cb1, v90
	v_add_f32_e32 v106, v92, v95
	v_mul_f32_e32 v92, 0x3f116cb1, v91
	v_fma_f32 v39, v90, s13, -v39
	v_mov_b32_e32 v93, v92
	v_add_f32_e32 v37, v39, v37
	v_fmac_f32_e32 v92, 0x3f52af12, v38
	v_sub_f32_e32 v39, v55, v57
	v_add_f32_e32 v36, v92, v36
	v_mul_f32_e32 v92, 0xbf29c268, v39
	v_fmac_f32_e32 v103, 0x3e750f2a, v38
	v_fmac_f32_e32 v93, 0xbf52af12, v38
	v_add_f32_e32 v95, v56, v54
	v_sub_f32_e32 v38, v54, v56
	v_mov_b32_e32 v54, v92
	v_add_f32_e32 v107, v93, v96
	v_add_f32_e32 v96, v57, v55
	v_fmac_f32_e32 v54, 0xbf3f9e67, v95
	v_mul_f32_e32 v93, 0xbf29c268, v38
	v_add_f32_e32 v103, v103, v94
	v_add_f32_e32 v42, v54, v42
	v_fma_f32 v54, v96, s16, -v93
	v_mul_f32_e32 v94, 0x3f7e222b, v39
	v_add_f32_e32 v43, v54, v43
	v_mov_b32_e32 v54, v94
	v_fmac_f32_e32 v54, 0x3df6dbef, v95
	v_mul_f32_e32 v97, 0x3f7e222b, v38
	v_add_f32_e32 v46, v54, v46
	v_fma_f32 v54, v96, s12, -v97
	v_add_f32_e32 v47, v54, v47
	v_mul_f32_e32 v54, 0xbf52af12, v39
	v_mov_b32_e32 v55, v54
	v_fmac_f32_e32 v55, 0x3f116cb1, v95
	v_add_f32_e32 v53, v55, v53
	v_mul_f32_e32 v55, 0x3f116cb1, v96
	v_mov_b32_e32 v56, v55
	v_fma_f32 v54, v95, s13, -v54
	v_fmac_f32_e32 v55, 0xbf52af12, v38
	v_fmac_f32_e32 v56, 0x3f52af12, v38
	v_add_f32_e32 v52, v54, v52
	v_add_f32_e32 v54, v55, v58
	v_mul_f32_e32 v58, 0xbf788fa5, v96
	v_add_f32_e32 v56, v56, v59
	v_mov_b32_e32 v59, v58
	v_fmac_f32_e32 v58, 0x3e750f2a, v38
	v_fmac_f32_e32 v59, 0xbe750f2a, v38
	v_add_f32_e32 v109, v58, v99
	v_mul_f32_e32 v58, 0x3eedf032, v39
	v_mul_f32_e32 v55, 0x3e750f2a, v39
	v_add_f32_e32 v108, v59, v100
	v_mov_b32_e32 v59, v58
	v_mov_b32_e32 v57, v55
	v_fmac_f32_e32 v59, 0x3f62ad3f, v95
	v_fma_f32 v58, v95, s15, -v58
	v_mul_f32_e32 v39, 0xbf6f5d39, v39
	v_fmac_f32_e32 v57, 0xbf788fa5, v95
	v_add_f32_e32 v110, v59, v102
	v_mul_f32_e32 v59, 0x3f62ad3f, v96
	v_add_f32_e32 v105, v58, v105
	v_mov_b32_e32 v58, v39
	v_add_f32_e32 v57, v57, v98
	v_fma_f32 v55, v95, s17, -v55
	v_mov_b32_e32 v98, v59
	v_fmac_f32_e32 v58, 0xbeb58ec6, v95
	v_add_f32_e32 v55, v55, v101
	v_fmac_f32_e32 v98, 0xbeedf032, v38
	v_fmac_f32_e32 v59, 0x3eedf032, v38
	v_add_f32_e32 v106, v58, v106
	v_mul_f32_e32 v58, 0xbeb58ec6, v96
	v_add_f32_e32 v101, v50, v48
	v_sub_f32_e32 v114, v48, v50
	v_sub_f32_e32 v50, v49, v51
	v_add_f32_e32 v104, v98, v104
	v_add_f32_e32 v111, v59, v103
	v_mov_b32_e32 v59, v58
	v_fmac_f32_e32 v58, 0xbf6f5d39, v38
	v_mul_f32_e32 v98, 0xbe750f2a, v50
	v_add_f32_e32 v113, v58, v36
	v_mov_b32_e32 v36, v98
	v_add_f32_e32 v102, v51, v49
	v_fmac_f32_e32 v36, 0xbf788fa5, v101
	v_mul_f32_e32 v99, 0xbe750f2a, v114
	v_add_f32_e32 v42, v36, v42
	v_fma_f32 v36, v102, s17, -v99
	v_mul_f32_e32 v100, 0x3eedf032, v50
	v_add_f32_e32 v43, v36, v43
	v_mov_b32_e32 v36, v100
	v_fmac_f32_e32 v36, 0x3f62ad3f, v101
	v_mul_f32_e32 v103, 0x3eedf032, v114
	v_add_f32_e32 v46, v36, v46
	v_fma_f32 v36, v102, s15, -v103
	v_fma_f32 v39, v95, s14, -v39
	v_add_f32_e32 v47, v36, v47
	v_mul_f32_e32 v36, 0xbf29c268, v50
	v_add_f32_e32 v112, v39, v37
	v_mov_b32_e32 v37, v36
	v_fmac_f32_e32 v37, 0xbf3f9e67, v101
	v_add_f32_e32 v48, v37, v53
	v_mul_f32_e32 v37, 0xbf3f9e67, v102
	v_fmac_f32_e32 v59, 0x3f6f5d39, v38
	v_mov_b32_e32 v38, v37
	v_fmac_f32_e32 v38, 0x3f29c268, v114
	v_add_f32_e32 v49, v38, v56
	v_fma_f32 v36, v101, s16, -v36
	v_mul_f32_e32 v38, 0x3f52af12, v50
	v_add_f32_e32 v58, v36, v52
	v_fmac_f32_e32 v37, 0xbf29c268, v114
	v_mov_b32_e32 v36, v38
	v_mul_f32_e32 v39, 0x3f116cb1, v102
	v_add_f32_e32 v107, v59, v107
	v_add_f32_e32 v59, v37, v54
	v_fmac_f32_e32 v36, 0x3f116cb1, v101
	v_mov_b32_e32 v37, v39
	v_fmac_f32_e32 v39, 0x3f52af12, v114
	v_mul_f32_e32 v52, 0xbeb58ec6, v102
	v_add_f32_e32 v36, v36, v57
	v_fma_f32 v38, v101, s13, -v38
	v_add_f32_e32 v57, v39, v109
	v_mul_f32_e32 v51, 0xbf6f5d39, v50
	v_mov_b32_e32 v39, v52
	v_fmac_f32_e32 v52, 0xbf6f5d39, v114
	v_add_f32_e32 v56, v38, v55
	v_mov_b32_e32 v38, v51
	v_fma_f32 v51, v101, s14, -v51
	v_add_f32_e32 v55, v52, v111
	v_mul_f32_e32 v52, 0x3f7e222b, v50
	v_mul_f32_e32 v53, 0x3df6dbef, v102
	v_add_f32_e32 v54, v51, v105
	v_mov_b32_e32 v50, v52
	v_mov_b32_e32 v51, v53
	v_fmac_f32_e32 v37, 0xbf52af12, v114
	v_fmac_f32_e32 v38, 0xbeb58ec6, v101
	v_fmac_f32_e32 v39, 0x3f6f5d39, v114
	v_fmac_f32_e32 v50, 0x3df6dbef, v101
	v_fmac_f32_e32 v51, 0xbf7e222b, v114
	v_fma_f32 v52, v101, s12, -v52
	v_fmac_f32_e32 v53, 0x3f7e222b, v114
	v_add_f32_e32 v37, v37, v108
	v_add_f32_e32 v38, v38, v110
	;; [unrolled: 1-line block ×7, first 2 shown]
	s_barrier
	s_and_saveexec_b64 s[12:13], s[0:1]
	s_cbranch_execz .LBB0_17
; %bb.16:
	v_mul_f32_e32 v105, 0x3f62ad3f, v77
	v_mul_f32_e32 v77, 0x3f116cb1, v77
	;; [unrolled: 1-line block ×3, first 2 shown]
	v_add_f32_e32 v75, v75, v77
	v_add_f32_e32 v68, v68, v105
	v_mul_f32_e32 v109, 0x3df6dbef, v85
	v_add_f32_e32 v75, v45, v75
	v_add_f32_e32 v45, v45, v68
	;; [unrolled: 1-line block ×3, first 2 shown]
	v_mul_f32_e32 v111, 0xbeb58ec6, v91
	v_add_f32_e32 v45, v61, v45
	v_add_f32_e32 v61, v63, v109
	v_mul_f32_e32 v113, 0xbf3f9e67, v96
	v_add_f32_e32 v45, v61, v45
	v_add_f32_e32 v61, v87, v111
	;; [unrolled: 3-line block ×3, first 2 shown]
	v_mul_f32_e32 v104, 0x3f62ad3f, v76
	v_mul_f32_e32 v76, 0x3f116cb1, v76
	v_add_f32_e32 v45, v61, v45
	v_add_f32_e32 v61, v99, v115
	v_mul_f32_e32 v106, 0x3f116cb1, v80
	v_sub_f32_e32 v74, v76, v74
	v_add_f32_e32 v45, v61, v45
	v_sub_f32_e32 v61, v104, v67
	v_mul_f32_e32 v80, 0xbeb58ec6, v80
	v_mul_f32_e32 v81, 0xbeb58ec6, v81
	;; [unrolled: 1-line block ×3, first 2 shown]
	v_add_f32_e32 v74, v44, v74
	v_add_f32_e32 v44, v44, v61
	v_sub_f32_e32 v60, v106, v60
	v_mul_f32_e32 v84, 0xbf788fa5, v84
	v_mul_f32_e32 v85, 0xbf788fa5, v85
	;; [unrolled: 1-line block ×3, first 2 shown]
	v_add_f32_e32 v77, v79, v81
	v_sub_f32_e32 v76, v80, v78
	v_add_f32_e32 v44, v60, v44
	v_sub_f32_e32 v60, v108, v62
	v_mul_f32_e32 v90, 0xbf3f9e67, v90
	v_mul_f32_e32 v91, 0xbf3f9e67, v91
	;; [unrolled: 1-line block ×3, first 2 shown]
	v_add_f32_e32 v75, v77, v75
	v_add_f32_e32 v77, v83, v85
	;; [unrolled: 1-line block ×3, first 2 shown]
	v_sub_f32_e32 v76, v84, v82
	v_add_f32_e32 v44, v60, v44
	v_sub_f32_e32 v60, v110, v86
	v_mul_f32_e32 v95, 0x3df6dbef, v95
	v_mul_f32_e32 v96, 0x3df6dbef, v96
	;; [unrolled: 1-line block ×3, first 2 shown]
	v_add_f32_e32 v75, v77, v75
	v_add_f32_e32 v77, v89, v91
	v_add_f32_e32 v74, v76, v74
	v_sub_f32_e32 v76, v90, v88
	v_add_f32_e32 v44, v60, v44
	v_sub_f32_e32 v60, v112, v92
	v_mul_f32_e32 v101, 0x3f62ad3f, v101
	v_mul_f32_e32 v102, 0x3f62ad3f, v102
	v_add_f32_e32 v75, v77, v75
	v_add_f32_e32 v77, v97, v96
	;; [unrolled: 1-line block ×3, first 2 shown]
	v_sub_f32_e32 v76, v95, v94
	v_add_f32_e32 v44, v60, v44
	v_sub_f32_e32 v60, v114, v98
	v_add_f32_e32 v75, v77, v75
	v_add_f32_e32 v77, v103, v102
	;; [unrolled: 1-line block ×3, first 2 shown]
	v_sub_f32_e32 v76, v101, v100
	v_add_f32_e32 v44, v60, v44
	v_lshlrev_b32_e32 v60, 3, v73
	v_add_f32_e32 v75, v77, v75
	v_add_f32_e32 v74, v76, v74
	ds_write2_b64 v60, v[40:41], v[42:43] offset1:1
	ds_write2_b64 v60, v[46:47], v[48:49] offset0:2 offset1:3
	ds_write2_b64 v60, v[36:37], v[38:39] offset0:4 offset1:5
	ds_write2_b64 v60, v[50:51], v[52:53] offset0:6 offset1:7
	ds_write2_b64 v60, v[54:55], v[56:57] offset0:8 offset1:9
	ds_write2_b64 v60, v[58:59], v[74:75] offset0:10 offset1:11
	ds_write_b64 v60, v[44:45] offset:96
.LBB0_17:
	s_or_b64 exec, exec, s[12:13]
	s_waitcnt lgkmcnt(0)
	s_barrier
	s_and_saveexec_b64 s[12:13], s[2:3]
	s_cbranch_execz .LBB0_19
; %bb.18:
	v_add_u32_e32 v36, 0x800, v69
	v_add_u32_e32 v44, 0x1800, v69
	ds_read2_b64 v[46:49], v36 offset0:4 offset1:134
	v_add_u32_e32 v36, 0x1000, v69
	ds_read2_b64 v[50:53], v44 offset0:12 offset1:142
	v_add_u32_e32 v44, 0x2000, v69
	ds_read2_b64 v[40:43], v69 offset1:130
	ds_read2_b64 v[36:39], v36 offset0:8 offset1:138
	ds_read2_b64 v[54:57], v44 offset0:16 offset1:146
	ds_read_b64 v[58:59], v69 offset:10400
.LBB0_19:
	s_or_b64 exec, exec, s[12:13]
	s_waitcnt lgkmcnt(0)
	s_barrier
	s_and_saveexec_b64 s[12:13], s[2:3]
	s_cbranch_execz .LBB0_21
; %bb.20:
	v_mul_f32_e32 v44, v13, v43
	v_mul_f32_e32 v45, v19, v59
	;; [unrolled: 1-line block ×3, first 2 shown]
	v_fmac_f32_e32 v44, v12, v42
	v_fmac_f32_e32 v45, v18, v58
	v_fma_f32 v12, v12, v43, -v13
	v_mul_f32_e32 v42, v15, v47
	v_mul_f32_e32 v43, v17, v57
	v_sub_f32_e32 v60, v44, v45
	v_mul_f32_e32 v19, v19, v58
	v_fmac_f32_e32 v42, v14, v46
	v_fmac_f32_e32 v43, v16, v56
	v_mul_f32_e32 v61, 0xbe903f40, v60
	v_fma_f32 v18, v18, v59, -v19
	v_sub_f32_e32 v58, v42, v43
	v_mul_f32_e32 v17, v17, v56
	v_mul_f32_e32 v15, v15, v46
	v_add_f32_e32 v13, v18, v12
	v_mov_b32_e32 v19, v61
	v_mul_f32_e32 v59, 0x3f0a6770, v58
	v_fma_f32 v16, v16, v57, -v17
	v_fma_f32 v14, v14, v47, -v15
	v_fmac_f32_e32 v19, 0xbf75a155, v13
	v_add_f32_e32 v15, v16, v14
	v_mov_b32_e32 v17, v59
	v_add_f32_e32 v19, v41, v19
	v_fmac_f32_e32 v17, 0x3f575c64, v15
	v_add_f32_e32 v17, v17, v19
	v_mul_f32_e32 v19, v5, v49
	v_mul_f32_e32 v46, v11, v55
	v_fmac_f32_e32 v19, v4, v48
	v_fmac_f32_e32 v46, v10, v54
	v_sub_f32_e32 v47, v19, v46
	v_mul_f32_e32 v11, v11, v54
	v_mul_f32_e32 v5, v5, v48
	;; [unrolled: 1-line block ×3, first 2 shown]
	v_fma_f32 v54, v10, v55, -v11
	v_fma_f32 v48, v4, v49, -v5
	v_add_f32_e32 v10, v54, v48
	v_mov_b32_e32 v4, v56
	v_fmac_f32_e32 v4, 0xbf27a4f4, v10
	v_add_f32_e32 v4, v4, v17
	v_mul_f32_e32 v17, v7, v37
	v_mul_f32_e32 v49, v9, v53
	v_fmac_f32_e32 v17, v6, v36
	v_fmac_f32_e32 v49, v8, v52
	v_sub_f32_e32 v55, v17, v49
	v_mul_f32_e32 v9, v9, v52
	v_mul_f32_e32 v7, v7, v36
	v_mul_f32_e32 v5, 0x3f68dda4, v55
	v_fma_f32 v52, v8, v53, -v9
	v_fma_f32 v36, v6, v37, -v7
	v_mul_f32_e32 v37, v1, v39
	v_mul_f32_e32 v53, v3, v51
	v_add_f32_e32 v11, v52, v36
	v_mov_b32_e32 v6, v5
	v_fmac_f32_e32 v37, v0, v38
	v_fmac_f32_e32 v53, v2, v50
	v_fmac_f32_e32 v6, 0x3ed4b147, v11
	v_sub_f32_e32 v57, v37, v53
	v_mul_f32_e32 v3, v3, v50
	v_mul_f32_e32 v1, v1, v38
	v_add_f32_e32 v4, v6, v4
	v_mul_f32_e32 v6, 0xbf7d64f0, v57
	v_fma_f32 v50, v2, v51, -v3
	v_fma_f32 v38, v0, v39, -v1
	v_add_f32_e32 v39, v50, v38
	v_mov_b32_e32 v0, v6
	v_sub_f32_e32 v62, v12, v18
	s_mov_b32 s2, 0xbf75a155
	v_fmac_f32_e32 v0, 0xbe11bafb, v39
	v_add_f32_e32 v51, v45, v44
	v_mul_f32_e32 v2, 0xbe903f40, v62
	v_sub_f32_e32 v67, v14, v16
	s_mov_b32 s3, 0x3f575c64
	v_add_f32_e32 v1, v0, v4
	v_fma_f32 v0, v51, s2, -v2
	v_add_f32_e32 v63, v43, v42
	v_mul_f32_e32 v4, 0x3f0a6770, v67
	v_sub_f32_e32 v73, v48, v54
	s_mov_b32 s14, 0xbf27a4f4
	v_add_f32_e32 v0, v40, v0
	v_fma_f32 v3, v63, s3, -v4
	;; [unrolled: 6-line block ×4, first 2 shown]
	v_add_f32_e32 v76, v53, v37
	v_mul_f32_e32 v9, 0xbf7d64f0, v77
	v_add_f32_e32 v0, v3, v0
	v_fma_f32 v3, v76, s16, -v9
	v_add_f32_e32 v0, v3, v0
	v_fma_f32 v3, v13, s2, -v61
	;; [unrolled: 2-line block ×4, first 2 shown]
	v_fmac_f32_e32 v2, 0xbf75a155, v51
	v_add_f32_e32 v3, v56, v3
	v_fma_f32 v5, v11, s15, -v5
	v_add_f32_e32 v2, v40, v2
	v_fmac_f32_e32 v4, 0x3f575c64, v63
	v_mul_f32_e32 v56, 0xbf27a4f4, v13
	v_add_f32_e32 v3, v5, v3
	v_fma_f32 v5, v39, s16, -v6
	v_add_f32_e32 v2, v4, v2
	v_mov_b32_e32 v4, v56
	v_mul_f32_e32 v59, 0xbe11bafb, v15
	v_add_f32_e32 v3, v5, v3
	v_fmac_f32_e32 v4, 0x3f4178ce, v60
	v_mov_b32_e32 v5, v59
	v_add_f32_e32 v4, v41, v4
	v_fmac_f32_e32 v5, 0xbf7d64f0, v58
	v_mul_f32_e32 v61, 0x3f575c64, v10
	v_add_f32_e32 v4, v5, v4
	v_mov_b32_e32 v5, v61
	v_fmac_f32_e32 v5, 0x3f0a6770, v47
	v_mul_f32_e32 v78, 0xbf75a155, v11
	v_add_f32_e32 v4, v5, v4
	v_mov_b32_e32 v5, v78
	;; [unrolled: 4-line block ×4, first 2 shown]
	v_mul_f32_e32 v81, 0x3f7d64f0, v67
	v_fmac_f32_e32 v4, 0xbf27a4f4, v51
	v_mov_b32_e32 v6, v81
	v_add_f32_e32 v4, v40, v4
	v_fmac_f32_e32 v6, 0xbe11bafb, v63
	v_mul_f32_e32 v82, 0xbf0a6770, v73
	v_add_f32_e32 v4, v6, v4
	v_mov_b32_e32 v6, v82
	v_fmac_f32_e32 v6, 0x3f575c64, v68
	v_mul_f32_e32 v83, 0xbe903f40, v75
	v_add_f32_e32 v4, v6, v4
	v_mov_b32_e32 v6, v83
	v_fmac_f32_e32 v6, 0xbf75a155, v74
	v_mul_f32_e32 v84, 0x3f68dda4, v77
	v_add_f32_e32 v4, v6, v4
	v_mov_b32_e32 v6, v84
	v_fmac_f32_e32 v6, 0x3ed4b147, v76
	v_mul_f32_e32 v85, 0xbe11bafb, v13
	v_fmac_f32_e32 v7, 0xbf27a4f4, v68
	v_add_f32_e32 v4, v6, v4
	v_mov_b32_e32 v6, v85
	v_mul_f32_e32 v86, 0xbf75a155, v15
	v_add_f32_e32 v2, v7, v2
	v_fmac_f32_e32 v6, 0x3f7d64f0, v60
	v_mov_b32_e32 v7, v86
	v_add_f32_e32 v6, v41, v6
	v_fmac_f32_e32 v7, 0xbe903f40, v58
	v_mul_f32_e32 v87, 0x3ed4b147, v10
	v_add_f32_e32 v6, v7, v6
	v_mov_b32_e32 v7, v87
	v_fmac_f32_e32 v7, 0xbf68dda4, v47
	v_mul_f32_e32 v88, 0x3f575c64, v11
	v_add_f32_e32 v6, v7, v6
	v_mov_b32_e32 v7, v88
	v_fmac_f32_e32 v7, 0x3f0a6770, v55
	v_mul_f32_e32 v89, 0xbf27a4f4, v39
	v_add_f32_e32 v6, v7, v6
	v_mov_b32_e32 v7, v89
	v_fmac_f32_e32 v7, 0x3f4178ce, v57
	v_mul_f32_e32 v90, 0xbf7d64f0, v62
	v_fmac_f32_e32 v8, 0x3ed4b147, v74
	v_add_f32_e32 v7, v7, v6
	v_mov_b32_e32 v6, v90
	v_mul_f32_e32 v91, 0x3e903f40, v67
	v_add_f32_e32 v2, v8, v2
	;; [unrolled: 22-line block ×3, first 2 shown]
	v_fmac_f32_e32 v8, 0x3f68dda4, v60
	v_mov_b32_e32 v9, v96
	v_add_f32_e32 v8, v41, v8
	v_fmac_f32_e32 v9, 0x3f4178ce, v58
	v_mul_f32_e32 v97, 0xbf75a155, v10
	v_add_f32_e32 v8, v9, v8
	v_mov_b32_e32 v9, v97
	v_fmac_f32_e32 v9, 0xbe903f40, v47
	v_mul_f32_e32 v98, 0xbe11bafb, v11
	v_add_f32_e32 v8, v9, v8
	v_mov_b32_e32 v9, v98
	v_fmac_f32_e32 v9, 0xbf7d64f0, v55
	v_mul_f32_e32 v99, 0x3f575c64, v39
	v_add_f32_e32 v8, v9, v8
	v_mov_b32_e32 v9, v99
	v_fmac_f32_e32 v9, 0xbf0a6770, v57
	v_mul_f32_e32 v100, 0xbf68dda4, v62
	v_add_f32_e32 v9, v9, v8
	v_mov_b32_e32 v8, v100
	v_mul_f32_e32 v101, 0xbf4178ce, v67
	v_fmac_f32_e32 v8, 0x3ed4b147, v51
	v_mov_b32_e32 v102, v101
	v_add_f32_e32 v8, v40, v8
	v_fmac_f32_e32 v102, 0xbf27a4f4, v63
	v_add_f32_e32 v8, v102, v8
	v_mul_f32_e32 v102, 0x3e903f40, v73
	v_mov_b32_e32 v103, v102
	v_fmac_f32_e32 v103, 0xbf75a155, v68
	v_add_f32_e32 v8, v103, v8
	v_mul_f32_e32 v103, 0x3f7d64f0, v75
	v_mov_b32_e32 v104, v103
	;; [unrolled: 4-line block ×4, first 2 shown]
	v_mul_f32_e32 v106, 0x3ed4b147, v15
	v_fmac_f32_e32 v13, 0x3f0a6770, v60
	v_mov_b32_e32 v15, v106
	v_mul_f32_e32 v107, 0xbe11bafb, v10
	v_add_f32_e32 v13, v41, v13
	v_fmac_f32_e32 v15, 0x3f68dda4, v58
	v_mov_b32_e32 v10, v107
	v_mul_f32_e32 v108, 0xbf27a4f4, v11
	v_add_f32_e32 v13, v15, v13
	v_fmac_f32_e32 v10, 0x3f7d64f0, v47
	v_mov_b32_e32 v11, v108
	v_add_f32_e32 v12, v12, v41
	v_add_f32_e32 v10, v10, v13
	v_fmac_f32_e32 v11, 0x3f4178ce, v55
	v_mul_f32_e32 v39, 0xbf75a155, v39
	v_add_f32_e32 v12, v14, v12
	v_add_f32_e32 v10, v11, v10
	v_mov_b32_e32 v11, v39
	v_add_f32_e32 v12, v48, v12
	v_fmac_f32_e32 v56, 0xbf4178ce, v60
	v_fmac_f32_e32 v11, 0x3e903f40, v57
	v_mul_f32_e32 v62, 0xbf0a6770, v62
	v_add_f32_e32 v12, v36, v12
	v_add_f32_e32 v14, v41, v56
	v_fmac_f32_e32 v59, 0x3f7d64f0, v58
	v_add_f32_e32 v11, v11, v10
	v_mov_b32_e32 v10, v62
	v_mul_f32_e32 v67, 0xbf68dda4, v67
	v_add_f32_e32 v12, v38, v12
	v_add_f32_e32 v14, v59, v14
	v_fmac_f32_e32 v61, 0xbf0a6770, v47
	v_fmac_f32_e32 v10, 0x3f575c64, v51
	v_mov_b32_e32 v13, v67
	v_add_f32_e32 v12, v50, v12
	v_add_f32_e32 v14, v61, v14
	v_fmac_f32_e32 v78, 0xbe903f40, v55
	v_add_f32_e32 v10, v40, v10
	v_fmac_f32_e32 v13, 0x3ed4b147, v63
	v_mul_f32_e32 v73, 0xbf7d64f0, v73
	v_add_f32_e32 v12, v52, v12
	v_add_f32_e32 v14, v78, v14
	v_fmac_f32_e32 v79, 0x3f68dda4, v57
	v_add_f32_e32 v10, v13, v10
	v_mov_b32_e32 v13, v73
	v_add_f32_e32 v12, v54, v12
	v_add_f32_e32 v15, v79, v14
	v_fma_f32 v14, v51, s14, -v80
	v_fmac_f32_e32 v13, 0xbe11bafb, v68
	v_mul_f32_e32 v75, 0xbf4178ce, v75
	v_add_f32_e32 v12, v16, v12
	v_add_f32_e32 v14, v40, v14
	v_fma_f32 v16, v63, s16, -v81
	v_add_f32_e32 v10, v13, v10
	v_mov_b32_e32 v13, v75
	v_add_f32_e32 v14, v16, v14
	v_fma_f32 v16, v68, s3, -v82
	v_fmac_f32_e32 v13, 0xbf27a4f4, v74
	v_mul_f32_e32 v77, 0xbe903f40, v77
	v_add_f32_e32 v14, v16, v14
	v_fma_f32 v16, v74, s2, -v83
	v_add_f32_e32 v10, v13, v10
	v_mov_b32_e32 v13, v77
	v_add_f32_e32 v14, v16, v14
	v_fma_f32 v16, v76, s15, -v84
	v_fmac_f32_e32 v85, 0xbf7d64f0, v60
	v_fmac_f32_e32 v13, 0xbf75a155, v76
	v_add_f32_e32 v14, v16, v14
	v_add_f32_e32 v16, v41, v85
	v_fmac_f32_e32 v86, 0x3e903f40, v58
	v_add_f32_e32 v10, v13, v10
	v_add_f32_e32 v13, v18, v12
	;; [unrolled: 1-line block ×4, first 2 shown]
	v_fmac_f32_e32 v87, 0x3f68dda4, v47
	v_add_f32_e32 v12, v42, v12
	v_add_f32_e32 v16, v87, v16
	v_fmac_f32_e32 v88, 0xbf0a6770, v55
	v_add_f32_e32 v12, v19, v12
	v_add_f32_e32 v16, v88, v16
	;; [unrolled: 3-line block ×3, first 2 shown]
	v_fma_f32 v16, v51, s16, -v90
	v_add_f32_e32 v16, v40, v16
	v_fma_f32 v18, v63, s2, -v91
	v_add_f32_e32 v16, v18, v16
	;; [unrolled: 2-line block ×4, first 2 shown]
	v_fma_f32 v18, v76, s14, -v94
	v_fmac_f32_e32 v95, 0xbf68dda4, v60
	v_add_f32_e32 v16, v18, v16
	v_add_f32_e32 v18, v41, v95
	v_fmac_f32_e32 v96, 0xbf4178ce, v58
	v_add_f32_e32 v18, v96, v18
	v_fmac_f32_e32 v97, 0x3e903f40, v47
	;; [unrolled: 2-line block ×4, first 2 shown]
	v_add_f32_e32 v19, v99, v18
	v_fma_f32 v18, v51, s15, -v100
	v_add_f32_e32 v18, v40, v18
	v_fma_f32 v36, v63, s14, -v101
	;; [unrolled: 2-line block ×5, first 2 shown]
	v_fmac_f32_e32 v105, 0xbf0a6770, v60
	v_add_f32_e32 v18, v36, v18
	v_add_f32_e32 v36, v41, v105
	v_fmac_f32_e32 v106, 0xbf68dda4, v58
	v_add_f32_e32 v36, v106, v36
	v_fmac_f32_e32 v107, 0xbf7d64f0, v47
	;; [unrolled: 2-line block ×4, first 2 shown]
	v_add_f32_e32 v12, v37, v12
	v_add_f32_e32 v37, v39, v36
	v_fma_f32 v36, v51, s3, -v62
	v_add_f32_e32 v36, v40, v36
	v_fma_f32 v38, v63, s15, -v67
	v_add_f32_e32 v12, v53, v12
	v_add_f32_e32 v36, v38, v36
	v_fma_f32 v38, v68, s16, -v73
	v_add_f32_e32 v12, v49, v12
	;; [unrolled: 3-line block ×4, first 2 shown]
	v_add_f32_e32 v36, v38, v36
	v_mul_u32_u24_e32 v38, 0x8f, v71
	v_add_f32_e32 v12, v45, v12
	v_add_lshl_u32 v38, v38, v72, 3
	ds_write2_b64 v38, v[12:13], v[10:11] offset1:13
	ds_write2_b64 v38, v[8:9], v[6:7] offset0:26 offset1:39
	ds_write2_b64 v38, v[4:5], v[2:3] offset0:52 offset1:65
	;; [unrolled: 1-line block ×4, first 2 shown]
	ds_write_b64 v38, v[36:37] offset:1040
.LBB0_21:
	s_or_b64 exec, exec, s[12:13]
	s_waitcnt lgkmcnt(0)
	s_barrier
	ds_read2_b64 v[3:6], v69 offset1:143
	v_add_u32_e32 v2, 0x800, v69
	ds_read2_b64 v[7:10], v2 offset0:30 offset1:173
	v_add_u32_e32 v1, 0x1000, v69
	ds_read2_b64 v[11:14], v1 offset0:60 offset1:203
	v_add_u32_e32 v0, 0x1800, v69
	s_waitcnt lgkmcnt(2)
	v_mul_f32_e32 v19, v33, v6
	ds_read2_b64 v[15:18], v0 offset0:90 offset1:233
	v_fmac_f32_e32 v19, v32, v5
	v_mul_f32_e32 v5, v33, v5
	v_add_u32_e32 v40, 0x2200, v69
	v_fma_f32 v32, v32, v6, -v5
	s_waitcnt lgkmcnt(2)
	v_mul_f32_e32 v5, v35, v8
	v_mul_f32_e32 v6, v35, v7
	ds_read2_b64 v[36:39], v40 offset0:56 offset1:199
	v_fmac_f32_e32 v5, v34, v7
	v_fma_f32 v6, v34, v8, -v6
	v_mul_f32_e32 v7, v29, v10
	v_mul_f32_e32 v8, v29, v9
	v_fmac_f32_e32 v7, v28, v9
	v_fma_f32 v8, v28, v10, -v8
	s_waitcnt lgkmcnt(2)
	v_mul_f32_e32 v9, v31, v12
	v_mul_f32_e32 v10, v31, v11
	v_fmac_f32_e32 v9, v30, v11
	v_fma_f32 v10, v30, v12, -v10
	v_mul_f32_e32 v11, v25, v14
	v_mul_f32_e32 v12, v25, v13
	v_fmac_f32_e32 v11, v24, v13
	v_fma_f32 v12, v24, v14, -v12
	s_waitcnt lgkmcnt(1)
	v_mul_f32_e32 v13, v27, v16
	v_mul_f32_e32 v14, v27, v15
	;; [unrolled: 9-line block ×3, first 2 shown]
	v_add_f32_e32 v23, v9, v13
	v_fma_f32 v18, v22, v37, -v18
	v_fma_f32 v23, -0.5, v23, v3
	v_fmac_f32_e32 v17, v22, v36
	v_sub_f32_e32 v24, v6, v18
	v_mov_b32_e32 v25, v23
	v_fmac_f32_e32 v25, 0xbf737871, v24
	v_sub_f32_e32 v26, v10, v14
	v_sub_f32_e32 v27, v5, v9
	;; [unrolled: 1-line block ×3, first 2 shown]
	v_fmac_f32_e32 v23, 0x3f737871, v24
	v_fmac_f32_e32 v25, 0xbf167918, v26
	v_add_f32_e32 v27, v27, v28
	v_fmac_f32_e32 v23, 0x3f167918, v26
	v_fmac_f32_e32 v25, 0x3e9e377a, v27
	;; [unrolled: 1-line block ×3, first 2 shown]
	v_add_f32_e32 v27, v5, v17
	v_fma_f32 v27, -0.5, v27, v3
	v_mov_b32_e32 v28, v27
	v_add_f32_e32 v22, v3, v5
	v_fmac_f32_e32 v28, 0x3f737871, v26
	v_sub_f32_e32 v3, v9, v5
	v_sub_f32_e32 v29, v13, v17
	v_fmac_f32_e32 v27, 0xbf737871, v26
	v_fmac_f32_e32 v28, 0xbf167918, v24
	v_add_f32_e32 v3, v3, v29
	v_fmac_f32_e32 v27, 0x3f167918, v24
	v_fmac_f32_e32 v28, 0x3e9e377a, v3
	;; [unrolled: 1-line block ×3, first 2 shown]
	v_add_f32_e32 v3, v4, v6
	v_add_f32_e32 v3, v3, v10
	;; [unrolled: 1-line block ×5, first 2 shown]
	v_fma_f32 v26, -0.5, v3, v4
	v_add_f32_e32 v22, v22, v9
	v_sub_f32_e32 v3, v5, v17
	v_mov_b32_e32 v29, v26
	v_add_f32_e32 v22, v22, v13
	v_fmac_f32_e32 v29, 0x3f737871, v3
	v_sub_f32_e32 v5, v9, v13
	v_sub_f32_e32 v9, v6, v10
	;; [unrolled: 1-line block ×3, first 2 shown]
	v_fmac_f32_e32 v26, 0xbf737871, v3
	v_fmac_f32_e32 v29, 0x3f167918, v5
	v_add_f32_e32 v9, v9, v13
	v_fmac_f32_e32 v26, 0xbf167918, v5
	v_fmac_f32_e32 v29, 0x3e9e377a, v9
	;; [unrolled: 1-line block ×3, first 2 shown]
	v_add_f32_e32 v9, v6, v18
	v_fma_f32 v30, -0.5, v9, v4
	v_mov_b32_e32 v31, v30
	v_fmac_f32_e32 v31, 0xbf737871, v5
	v_fmac_f32_e32 v30, 0x3f737871, v5
	v_fmac_f32_e32 v31, 0x3f167918, v3
	v_fmac_f32_e32 v30, 0xbf167918, v3
	v_add_f32_e32 v3, v19, v7
	v_mul_f32_e32 v20, v66, v39
	v_add_f32_e32 v3, v3, v11
	v_fmac_f32_e32 v20, v65, v38
	v_add_f32_e32 v3, v3, v15
	v_mul_f32_e32 v21, v66, v38
	v_add_f32_e32 v13, v3, v20
	v_add_f32_e32 v3, v11, v15
	v_fma_f32 v21, v65, v39, -v21
	v_sub_f32_e32 v4, v10, v6
	v_sub_f32_e32 v6, v14, v18
	v_fma_f32 v14, -0.5, v3, v19
	v_add_f32_e32 v4, v4, v6
	v_sub_f32_e32 v3, v8, v21
	v_mov_b32_e32 v6, v14
	v_fmac_f32_e32 v31, 0x3e9e377a, v4
	v_fmac_f32_e32 v30, 0x3e9e377a, v4
	;; [unrolled: 1-line block ×3, first 2 shown]
	v_sub_f32_e32 v4, v12, v16
	v_sub_f32_e32 v5, v7, v11
	;; [unrolled: 1-line block ×3, first 2 shown]
	v_fmac_f32_e32 v14, 0x3f737871, v3
	v_fmac_f32_e32 v6, 0xbf167918, v4
	v_add_f32_e32 v5, v5, v9
	v_fmac_f32_e32 v14, 0x3f167918, v4
	v_fmac_f32_e32 v6, 0x3e9e377a, v5
	;; [unrolled: 1-line block ×3, first 2 shown]
	v_add_f32_e32 v5, v7, v20
	v_fmac_f32_e32 v19, -0.5, v5
	v_mov_b32_e32 v10, v19
	v_fmac_f32_e32 v10, 0x3f737871, v4
	v_fmac_f32_e32 v19, 0xbf737871, v4
	;; [unrolled: 1-line block ×4, first 2 shown]
	v_add_f32_e32 v3, v32, v8
	v_add_f32_e32 v3, v3, v12
	;; [unrolled: 1-line block ×6, first 2 shown]
	v_sub_f32_e32 v5, v11, v7
	v_sub_f32_e32 v9, v15, v20
	v_fma_f32 v17, -0.5, v3, v32
	v_add_f32_e32 v5, v5, v9
	v_sub_f32_e32 v3, v7, v20
	v_mov_b32_e32 v20, v17
	v_fmac_f32_e32 v10, 0x3e9e377a, v5
	v_fmac_f32_e32 v19, 0x3e9e377a, v5
	;; [unrolled: 1-line block ×3, first 2 shown]
	v_sub_f32_e32 v4, v11, v15
	v_sub_f32_e32 v5, v8, v12
	;; [unrolled: 1-line block ×3, first 2 shown]
	v_fmac_f32_e32 v17, 0xbf737871, v3
	v_fmac_f32_e32 v20, 0x3f167918, v4
	v_add_f32_e32 v5, v5, v7
	v_fmac_f32_e32 v17, 0xbf167918, v4
	v_fmac_f32_e32 v20, 0x3e9e377a, v5
	;; [unrolled: 1-line block ×3, first 2 shown]
	v_add_f32_e32 v5, v8, v21
	v_fmac_f32_e32 v32, -0.5, v5
	v_mov_b32_e32 v15, v32
	v_fmac_f32_e32 v15, 0xbf737871, v4
	v_sub_f32_e32 v5, v12, v8
	v_sub_f32_e32 v7, v16, v21
	v_fmac_f32_e32 v32, 0x3f737871, v4
	v_fmac_f32_e32 v15, 0x3f167918, v3
	v_add_f32_e32 v5, v5, v7
	v_fmac_f32_e32 v32, 0xbf167918, v3
	v_fmac_f32_e32 v15, 0x3e9e377a, v5
	;; [unrolled: 1-line block ×3, first 2 shown]
	v_mul_f32_e32 v16, 0xbf167918, v20
	v_mul_f32_e32 v20, 0x3f4f1bbd, v20
	v_fmac_f32_e32 v16, 0x3f4f1bbd, v6
	v_mul_f32_e32 v21, 0xbf737871, v15
	v_mul_f32_e32 v33, 0xbf737871, v32
	;; [unrolled: 1-line block ×3, first 2 shown]
	v_fmac_f32_e32 v20, 0x3f167918, v6
	v_mul_f32_e32 v35, 0x3e9e377a, v15
	v_mul_f32_e32 v32, 0xbe9e377a, v32
	;; [unrolled: 1-line block ×3, first 2 shown]
	s_movk_i32 s2, 0x1000
	v_add_f32_e32 v3, v22, v13
	v_add_f32_e32 v5, v25, v16
	v_fmac_f32_e32 v21, 0x3e9e377a, v10
	v_fmac_f32_e32 v33, 0xbe9e377a, v19
	;; [unrolled: 1-line block ×3, first 2 shown]
	v_add_f32_e32 v4, v24, v18
	v_add_f32_e32 v6, v29, v20
	v_fmac_f32_e32 v35, 0x3f737871, v10
	v_fmac_f32_e32 v32, 0x3f737871, v19
	;; [unrolled: 1-line block ×3, first 2 shown]
	v_add_f32_e32 v7, v28, v21
	v_add_f32_e32 v9, v27, v33
	;; [unrolled: 1-line block ×6, first 2 shown]
	v_sub_f32_e32 v13, v22, v13
	v_sub_f32_e32 v15, v25, v16
	;; [unrolled: 1-line block ×10, first 2 shown]
	ds_write2_b64 v69, v[3:4], v[5:6] offset1:143
	ds_write2_b64 v2, v[7:8], v[9:10] offset0:30 offset1:173
	ds_write2_b64 v1, v[11:12], v[13:14] offset0:60 offset1:203
	;; [unrolled: 1-line block ×4, first 2 shown]
	s_waitcnt lgkmcnt(0)
	s_barrier
	s_and_b64 exec, exec, s[0:1]
	s_cbranch_execz .LBB0_23
; %bb.22:
	global_load_dwordx2 v[11:12], v69, s[10:11]
	global_load_dwordx2 v[13:14], v69, s[10:11] offset:880
	global_load_dwordx2 v[15:16], v69, s[10:11] offset:1760
	global_load_dwordx2 v[17:18], v69, s[10:11] offset:2640
	ds_read_b64 v[19:20], v69
	global_load_dwordx2 v[25:26], v69, s[10:11] offset:3520
	v_mad_u64_u32 v[21:22], s[0:1], s6, v64, 0
	ds_read2_b64 v[3:6], v69 offset0:110 offset1:220
	v_mad_u64_u32 v[23:24], s[12:13], s4, v70, 0
	v_mov_b32_e32 v27, s11
	v_add_co_u32_e32 v40, vcc, s10, v69
	v_mov_b32_e32 v39, s9
	s_mul_i32 s6, s5, 0x370
	s_mul_hi_u32 s9, s4, 0x370
	ds_read2_b64 v[7:10], v2 offset0:74 offset1:184
	v_addc_co_u32_e32 v41, vcc, 0, v27, vcc
	v_mov_b32_e32 v2, v22
	s_mul_i32 s3, s4, 0x370
	s_add_i32 s4, s9, s6
	v_add_co_u32_e32 v27, vcc, s2, v40
	v_mov_b32_e32 v22, v24
	s_waitcnt lgkmcnt(1)
	v_mad_u64_u32 v[29:30], s[6:7], s7, v64, v[2:3]
	v_addc_co_u32_e32 v28, vcc, 0, v41, vcc
	v_mad_u64_u32 v[30:31], s[6:7], s5, v70, v[22:23]
	global_load_dwordx2 v[31:32], v[27:28], off offset:304
	global_load_dwordx2 v[33:34], v[27:28], off offset:1184
	global_load_dwordx2 v[35:36], v[27:28], off offset:2064
	global_load_dwordx2 v[37:38], v[27:28], off offset:2944
	v_mov_b32_e32 v22, v29
	v_lshlrev_b64 v[21:22], 3, v[21:22]
	v_mov_b32_e32 v24, v30
	v_lshlrev_b64 v[23:24], 3, v[23:24]
	v_add_co_u32_e32 v2, vcc, s8, v21
	v_addc_co_u32_e32 v22, vcc, v39, v22, vcc
	v_add_co_u32_e32 v21, vcc, v2, v23
	v_addc_co_u32_e32 v22, vcc, v22, v24, vcc
	v_mov_b32_e32 v42, s4
	v_add_co_u32_e32 v23, vcc, s3, v21
	v_addc_co_u32_e32 v24, vcc, v22, v42, vcc
	v_mov_b32_e32 v43, s4
	v_add_co_u32_e32 v29, vcc, s3, v23
	v_addc_co_u32_e32 v30, vcc, v24, v43, vcc
	s_mov_b32 s0, 0xd118b474
	s_mov_b32 s1, 0x3f46ea28
	s_movk_i32 s2, 0x2000
	s_waitcnt vmcnt(8)
	v_mul_f32_e32 v2, v20, v12
	v_mul_f32_e32 v12, v19, v12
	s_waitcnt vmcnt(7)
	v_mul_f32_e32 v39, v4, v14
	v_mul_f32_e32 v14, v3, v14
	s_waitcnt vmcnt(6)
	v_mul_f32_e32 v42, v6, v16
	v_fmac_f32_e32 v2, v19, v11
	v_fma_f32 v11, v11, v20, -v12
	v_mul_f32_e32 v16, v5, v16
	s_waitcnt vmcnt(5) lgkmcnt(0)
	v_mul_f32_e32 v43, v8, v18
	v_fmac_f32_e32 v39, v3, v13
	v_fma_f32 v12, v13, v4, -v14
	v_fmac_f32_e32 v42, v5, v15
	v_cvt_f64_f32_e32 v[2:3], v2
	v_cvt_f64_f32_e32 v[4:5], v11
	v_mul_f32_e32 v44, v7, v18
	v_fma_f32 v15, v15, v6, -v16
	v_fmac_f32_e32 v43, v7, v17
	v_cvt_f64_f32_e32 v[6:7], v39
	v_cvt_f64_f32_e32 v[11:12], v12
	;; [unrolled: 1-line block ×4, first 2 shown]
	v_mul_f64 v[2:3], v[2:3], s[0:1]
	v_mul_f64 v[4:5], v[4:5], s[0:1]
	;; [unrolled: 1-line block ×6, first 2 shown]
	v_fma_f32 v8, v17, v8, -v44
	v_cvt_f64_f32_e32 v[18:19], v43
	v_cvt_f32_f64_e32 v2, v[2:3]
	v_cvt_f32_f64_e32 v3, v[4:5]
	;; [unrolled: 1-line block ×6, first 2 shown]
	v_cvt_f64_f32_e32 v[11:12], v8
	global_store_dwordx2 v[21:22], v[2:3], off
	global_store_dwordx2 v[23:24], v[4:5], off
	;; [unrolled: 1-line block ×3, first 2 shown]
	s_waitcnt vmcnt(7)
	v_mul_f32_e32 v4, v10, v26
	v_fmac_f32_e32 v4, v9, v25
	v_cvt_f64_f32_e32 v[7:8], v4
	v_mul_f32_e32 v4, v9, v26
	v_mul_f64 v[2:3], v[11:12], s[0:1]
	v_fma_f32 v4, v25, v10, -v4
	global_load_dwordx2 v[11:12], v[27:28], off offset:3824
	v_mul_f64 v[17:18], v[18:19], s[0:1]
	v_cvt_f64_f32_e32 v[9:10], v4
	v_mov_b32_e32 v14, s4
	v_add_co_u32_e32 v13, vcc, s3, v29
	v_mul_f64 v[9:10], v[9:10], s[0:1]
	v_cvt_f32_f64_e32 v6, v[2:3]
	v_addc_co_u32_e32 v14, vcc, v30, v14, vcc
	v_cvt_f32_f64_e32 v5, v[17:18]
	v_mul_f64 v[7:8], v[7:8], s[0:1]
	v_mov_b32_e32 v17, s4
	ds_read2_b64 v[1:4], v1 offset0:38 offset1:148
	global_store_dwordx2 v[13:14], v[5:6], off
	v_cvt_f32_f64_e32 v6, v[9:10]
	v_add_co_u32_e32 v9, vcc, s2, v40
	v_addc_co_u32_e32 v10, vcc, 0, v41, vcc
	global_load_dwordx2 v[15:16], v[9:10], off offset:608
	v_add_co_u32_e32 v13, vcc, s3, v13
	v_addc_co_u32_e32 v14, vcc, v14, v17, vcc
	global_load_dwordx2 v[17:18], v[9:10], off offset:1488
	v_cvt_f32_f64_e32 v5, v[7:8]
	s_waitcnt vmcnt(10) lgkmcnt(0)
	v_mul_f32_e32 v7, v2, v32
	v_fmac_f32_e32 v7, v1, v31
	v_mul_f32_e32 v1, v1, v32
	v_fma_f32 v1, v31, v2, -v1
	v_cvt_f64_f32_e32 v[1:2], v1
	v_cvt_f64_f32_e32 v[7:8], v7
	global_store_dwordx2 v[13:14], v[5:6], off
	v_mov_b32_e32 v21, s4
	v_mul_f64 v[1:2], v[1:2], s[0:1]
	v_mul_f64 v[7:8], v[7:8], s[0:1]
	v_add_co_u32_e32 v13, vcc, s3, v13
	v_addc_co_u32_e32 v14, vcc, v14, v21, vcc
	v_cvt_f32_f64_e32 v6, v[1:2]
	s_waitcnt vmcnt(10)
	v_mul_f32_e32 v1, v4, v34
	v_fmac_f32_e32 v1, v3, v33
	v_cvt_f32_f64_e32 v5, v[7:8]
	v_cvt_f64_f32_e32 v[7:8], v1
	v_mul_f32_e32 v1, v3, v34
	v_fma_f32 v1, v33, v4, -v1
	v_cvt_f64_f32_e32 v[19:20], v1
	ds_read2_b64 v[0:3], v0 offset0:2 offset1:112
	global_store_dwordx2 v[13:14], v[5:6], off
	v_mul_f64 v[4:5], v[7:8], s[0:1]
	v_mul_f64 v[6:7], v[19:20], s[0:1]
	v_add_co_u32_e32 v13, vcc, s3, v13
	s_waitcnt vmcnt(10) lgkmcnt(0)
	v_mul_f32_e32 v8, v1, v36
	v_fmac_f32_e32 v8, v0, v35
	v_mul_f32_e32 v0, v0, v36
	v_fma_f32 v0, v35, v1, -v0
	v_cvt_f64_f32_e32 v[0:1], v0
	v_cvt_f64_f32_e32 v[19:20], v8
	v_cvt_f32_f64_e32 v4, v[4:5]
	v_cvt_f32_f64_e32 v5, v[6:7]
	v_mul_f64 v[0:1], v[0:1], s[0:1]
	v_mul_f64 v[6:7], v[19:20], s[0:1]
	v_mov_b32_e32 v8, s4
	v_addc_co_u32_e32 v14, vcc, v14, v8, vcc
	global_store_dwordx2 v[13:14], v[4:5], off
	v_add_co_u32_e32 v13, vcc, s3, v13
	v_cvt_f32_f64_e32 v5, v[0:1]
	s_waitcnt vmcnt(10)
	v_mul_f32_e32 v0, v3, v38
	v_fmac_f32_e32 v0, v2, v37
	v_cvt_f32_f64_e32 v4, v[6:7]
	v_cvt_f64_f32_e32 v[6:7], v0
	v_mul_f32_e32 v0, v2, v38
	v_fma_f32 v0, v37, v3, -v0
	v_cvt_f64_f32_e32 v[19:20], v0
	v_add_u32_e32 v0, 0x1c00, v69
	ds_read2_b64 v[0:3], v0 offset0:94 offset1:204
	v_addc_co_u32_e32 v14, vcc, v14, v8, vcc
	global_store_dwordx2 v[13:14], v[4:5], off
	v_mul_f64 v[4:5], v[6:7], s[0:1]
	s_waitcnt vmcnt(7) lgkmcnt(0)
	v_mul_f32_e32 v8, v1, v12
	v_mul_f64 v[6:7], v[19:20], s[0:1]
	v_fmac_f32_e32 v8, v0, v11
	v_mul_f32_e32 v0, v0, v12
	v_fma_f32 v0, v11, v1, -v0
	v_cvt_f64_f32_e32 v[0:1], v0
	v_cvt_f64_f32_e32 v[19:20], v8
	v_cvt_f32_f64_e32 v4, v[4:5]
	v_mov_b32_e32 v8, s4
	v_mul_f64 v[0:1], v[0:1], s[0:1]
	v_cvt_f32_f64_e32 v5, v[6:7]
	v_mul_f64 v[6:7], v[19:20], s[0:1]
	v_add_co_u32_e32 v11, vcc, s3, v13
	v_addc_co_u32_e32 v12, vcc, v14, v8, vcc
	global_store_dwordx2 v[11:12], v[4:5], off
	v_cvt_f32_f64_e32 v5, v[0:1]
	s_waitcnt vmcnt(6)
	v_mul_f32_e32 v0, v3, v16
	v_fmac_f32_e32 v0, v2, v15
	v_cvt_f32_f64_e32 v4, v[6:7]
	v_cvt_f64_f32_e32 v[6:7], v0
	v_mul_f32_e32 v0, v2, v16
	v_fma_f32 v0, v15, v3, -v0
	v_cvt_f64_f32_e32 v[13:14], v0
	v_add_u32_e32 v0, 0x2400, v69
	ds_read2_b64 v[0:3], v0 offset0:58 offset1:168
	v_add_co_u32_e32 v11, vcc, s3, v11
	v_addc_co_u32_e32 v12, vcc, v12, v8, vcc
	global_store_dwordx2 v[11:12], v[4:5], off
	v_mul_f64 v[4:5], v[6:7], s[0:1]
	v_mul_f64 v[6:7], v[13:14], s[0:1]
	s_waitcnt vmcnt(6) lgkmcnt(0)
	v_mul_f32_e32 v8, v1, v18
	v_fmac_f32_e32 v8, v0, v17
	v_mul_f32_e32 v0, v0, v18
	v_fma_f32 v0, v17, v1, -v0
	v_cvt_f64_f32_e32 v[13:14], v8
	v_cvt_f64_f32_e32 v[0:1], v0
	v_cvt_f32_f64_e32 v4, v[4:5]
	v_cvt_f32_f64_e32 v5, v[6:7]
	v_mul_f64 v[6:7], v[13:14], s[0:1]
	v_mul_f64 v[0:1], v[0:1], s[0:1]
	v_mov_b32_e32 v8, s4
	v_add_co_u32_e32 v11, vcc, s3, v11
	v_addc_co_u32_e32 v12, vcc, v12, v8, vcc
	global_store_dwordx2 v[11:12], v[4:5], off
	v_cvt_f32_f64_e32 v4, v[6:7]
	v_cvt_f32_f64_e32 v5, v[0:1]
	v_mov_b32_e32 v1, s4
	v_add_co_u32_e32 v0, vcc, s3, v11
	v_addc_co_u32_e32 v1, vcc, v12, v1, vcc
	global_store_dwordx2 v[0:1], v[4:5], off
	global_load_dwordx2 v[4:5], v[9:10], off offset:2368
	v_add_co_u32_e32 v0, vcc, s3, v0
	s_waitcnt vmcnt(0)
	v_mul_f32_e32 v6, v3, v5
	v_fmac_f32_e32 v6, v2, v4
	v_mul_f32_e32 v2, v2, v5
	v_fma_f32 v2, v4, v3, -v2
	v_cvt_f64_f32_e32 v[6:7], v6
	v_cvt_f64_f32_e32 v[2:3], v2
	v_mul_f64 v[4:5], v[6:7], s[0:1]
	v_mul_f64 v[2:3], v[2:3], s[0:1]
	v_cvt_f32_f64_e32 v4, v[4:5]
	v_cvt_f32_f64_e32 v5, v[2:3]
	v_mov_b32_e32 v2, s4
	v_addc_co_u32_e32 v1, vcc, v1, v2, vcc
	global_store_dwordx2 v[0:1], v[4:5], off
.LBB0_23:
	s_endpgm
	.section	.rodata,"a",@progbits
	.p2align	6, 0x0
	.amdhsa_kernel bluestein_single_fwd_len1430_dim1_sp_op_CI_CI
		.amdhsa_group_segment_fixed_size 11440
		.amdhsa_private_segment_fixed_size 0
		.amdhsa_kernarg_size 104
		.amdhsa_user_sgpr_count 6
		.amdhsa_user_sgpr_private_segment_buffer 1
		.amdhsa_user_sgpr_dispatch_ptr 0
		.amdhsa_user_sgpr_queue_ptr 0
		.amdhsa_user_sgpr_kernarg_segment_ptr 1
		.amdhsa_user_sgpr_dispatch_id 0
		.amdhsa_user_sgpr_flat_scratch_init 0
		.amdhsa_user_sgpr_private_segment_size 0
		.amdhsa_uses_dynamic_stack 0
		.amdhsa_system_sgpr_private_segment_wavefront_offset 0
		.amdhsa_system_sgpr_workgroup_id_x 1
		.amdhsa_system_sgpr_workgroup_id_y 0
		.amdhsa_system_sgpr_workgroup_id_z 0
		.amdhsa_system_sgpr_workgroup_info 0
		.amdhsa_system_vgpr_workitem_id 0
		.amdhsa_next_free_vgpr 129
		.amdhsa_next_free_sgpr 19
		.amdhsa_reserve_vcc 1
		.amdhsa_reserve_flat_scratch 0
		.amdhsa_float_round_mode_32 0
		.amdhsa_float_round_mode_16_64 0
		.amdhsa_float_denorm_mode_32 3
		.amdhsa_float_denorm_mode_16_64 3
		.amdhsa_dx10_clamp 1
		.amdhsa_ieee_mode 1
		.amdhsa_fp16_overflow 0
		.amdhsa_exception_fp_ieee_invalid_op 0
		.amdhsa_exception_fp_denorm_src 0
		.amdhsa_exception_fp_ieee_div_zero 0
		.amdhsa_exception_fp_ieee_overflow 0
		.amdhsa_exception_fp_ieee_underflow 0
		.amdhsa_exception_fp_ieee_inexact 0
		.amdhsa_exception_int_div_zero 0
	.end_amdhsa_kernel
	.text
.Lfunc_end0:
	.size	bluestein_single_fwd_len1430_dim1_sp_op_CI_CI, .Lfunc_end0-bluestein_single_fwd_len1430_dim1_sp_op_CI_CI
                                        ; -- End function
	.section	.AMDGPU.csdata,"",@progbits
; Kernel info:
; codeLenInByte = 16368
; NumSgprs: 23
; NumVgprs: 129
; ScratchSize: 0
; MemoryBound: 0
; FloatMode: 240
; IeeeMode: 1
; LDSByteSize: 11440 bytes/workgroup (compile time only)
; SGPRBlocks: 2
; VGPRBlocks: 32
; NumSGPRsForWavesPerEU: 23
; NumVGPRsForWavesPerEU: 129
; Occupancy: 1
; WaveLimiterHint : 1
; COMPUTE_PGM_RSRC2:SCRATCH_EN: 0
; COMPUTE_PGM_RSRC2:USER_SGPR: 6
; COMPUTE_PGM_RSRC2:TRAP_HANDLER: 0
; COMPUTE_PGM_RSRC2:TGID_X_EN: 1
; COMPUTE_PGM_RSRC2:TGID_Y_EN: 0
; COMPUTE_PGM_RSRC2:TGID_Z_EN: 0
; COMPUTE_PGM_RSRC2:TIDIG_COMP_CNT: 0
	.type	__hip_cuid_92868f5cbaa552d7,@object ; @__hip_cuid_92868f5cbaa552d7
	.section	.bss,"aw",@nobits
	.globl	__hip_cuid_92868f5cbaa552d7
__hip_cuid_92868f5cbaa552d7:
	.byte	0                               ; 0x0
	.size	__hip_cuid_92868f5cbaa552d7, 1

	.ident	"AMD clang version 19.0.0git (https://github.com/RadeonOpenCompute/llvm-project roc-6.4.0 25133 c7fe45cf4b819c5991fe208aaa96edf142730f1d)"
	.section	".note.GNU-stack","",@progbits
	.addrsig
	.addrsig_sym __hip_cuid_92868f5cbaa552d7
	.amdgpu_metadata
---
amdhsa.kernels:
  - .args:
      - .actual_access:  read_only
        .address_space:  global
        .offset:         0
        .size:           8
        .value_kind:     global_buffer
      - .actual_access:  read_only
        .address_space:  global
        .offset:         8
        .size:           8
        .value_kind:     global_buffer
      - .actual_access:  read_only
        .address_space:  global
        .offset:         16
        .size:           8
        .value_kind:     global_buffer
      - .actual_access:  read_only
        .address_space:  global
        .offset:         24
        .size:           8
        .value_kind:     global_buffer
      - .actual_access:  read_only
        .address_space:  global
        .offset:         32
        .size:           8
        .value_kind:     global_buffer
      - .offset:         40
        .size:           8
        .value_kind:     by_value
      - .address_space:  global
        .offset:         48
        .size:           8
        .value_kind:     global_buffer
      - .address_space:  global
        .offset:         56
        .size:           8
        .value_kind:     global_buffer
      - .address_space:  global
        .offset:         64
        .size:           8
        .value_kind:     global_buffer
      - .address_space:  global
        .offset:         72
        .size:           8
        .value_kind:     global_buffer
      - .offset:         80
        .size:           4
        .value_kind:     by_value
      - .address_space:  global
        .offset:         88
        .size:           8
        .value_kind:     global_buffer
      - .address_space:  global
        .offset:         96
        .size:           8
        .value_kind:     global_buffer
    .group_segment_fixed_size: 11440
    .kernarg_segment_align: 8
    .kernarg_segment_size: 104
    .language:       OpenCL C
    .language_version:
      - 2
      - 0
    .max_flat_workgroup_size: 143
    .name:           bluestein_single_fwd_len1430_dim1_sp_op_CI_CI
    .private_segment_fixed_size: 0
    .sgpr_count:     23
    .sgpr_spill_count: 0
    .symbol:         bluestein_single_fwd_len1430_dim1_sp_op_CI_CI.kd
    .uniform_work_group_size: 1
    .uses_dynamic_stack: false
    .vgpr_count:     129
    .vgpr_spill_count: 0
    .wavefront_size: 64
amdhsa.target:   amdgcn-amd-amdhsa--gfx906
amdhsa.version:
  - 1
  - 2
...

	.end_amdgpu_metadata
